;; amdgpu-corpus repo=ROCm/rocFFT kind=compiled arch=gfx906 opt=O3
	.text
	.amdgcn_target "amdgcn-amd-amdhsa--gfx906"
	.amdhsa_code_object_version 6
	.protected	bluestein_single_back_len990_dim1_half_op_CI_CI ; -- Begin function bluestein_single_back_len990_dim1_half_op_CI_CI
	.globl	bluestein_single_back_len990_dim1_half_op_CI_CI
	.p2align	8
	.type	bluestein_single_back_len990_dim1_half_op_CI_CI,@function
bluestein_single_back_len990_dim1_half_op_CI_CI: ; @bluestein_single_back_len990_dim1_half_op_CI_CI
; %bb.0:
	s_load_dwordx4 s[12:15], s[4:5], 0x28
	v_mul_u32_u24_e32 v1, 0x254, v0
	v_add_u32_sdwa v18, s6, v1 dst_sel:DWORD dst_unused:UNUSED_PAD src0_sel:DWORD src1_sel:WORD_1
	v_mov_b32_e32 v19, 0
	s_waitcnt lgkmcnt(0)
	v_cmp_gt_u64_e32 vcc, s[12:13], v[18:19]
	s_and_saveexec_b64 s[0:1], vcc
	s_cbranch_execz .LBB0_31
; %bb.1:
	s_load_dwordx4 s[0:3], s[4:5], 0x18
	s_load_dwordx2 s[12:13], s[4:5], 0x0
	s_waitcnt lgkmcnt(0)
	v_mov_b32_e32 v10, s13
	s_load_dwordx4 s[8:11], s[0:1], 0x0
	s_movk_i32 s0, 0x6e
	v_mul_lo_u16_sdwa v1, v1, s0 dst_sel:DWORD dst_unused:UNUSED_PAD src0_sel:WORD_1 src1_sel:DWORD
	v_sub_u16_e32 v47, v0, v1
	v_lshlrev_b32_e32 v39, 2, v47
	s_waitcnt lgkmcnt(0)
	v_mad_u64_u32 v[0:1], s[0:1], s10, v18, 0
	v_mad_u64_u32 v[2:3], s[0:1], s8, v47, 0
	global_load_dword v48, v39, s[12:13]
	v_mad_u64_u32 v[4:5], s[0:1], s11, v18, v[1:2]
	v_mad_u64_u32 v[5:6], s[0:1], s9, v47, v[3:4]
	v_mov_b32_e32 v1, v4
	v_lshlrev_b64 v[0:1], 2, v[0:1]
	v_mov_b32_e32 v6, s15
	v_mov_b32_e32 v3, v5
	v_add_co_u32_e32 v4, vcc, s14, v0
	v_addc_co_u32_e32 v5, vcc, v6, v1, vcc
	v_lshlrev_b64 v[0:1], 2, v[2:3]
	s_mul_i32 s0, s9, 0x1ef
	s_mul_hi_u32 s1, s8, 0x1ef
	s_add_i32 s1, s1, s0
	s_mul_i32 s0, s8, 0x1ef
	v_add_co_u32_e32 v0, vcc, v4, v0
	s_lshl_b64 s[14:15], s[0:1], 2
	s_mul_hi_u32 s1, s8, 0xfffffe7f
	v_addc_co_u32_e32 v1, vcc, v5, v1, vcc
	s_mul_i32 s0, s9, 0xfffffe7f
	s_sub_i32 s1, s1, s8
	v_mov_b32_e32 v4, s15
	v_add_co_u32_e32 v2, vcc, s14, v0
	s_add_i32 s1, s1, s0
	s_mul_i32 s0, s8, 0xfffffe7f
	v_addc_co_u32_e32 v3, vcc, v1, v4, vcc
	s_lshl_b64 s[16:17], s[0:1], 2
	global_load_dword v5, v[0:1], off
	global_load_dword v6, v[2:3], off
	global_load_dword v46, v39, s[12:13] offset:1980
	v_mov_b32_e32 v7, s17
	v_add_co_u32_e32 v0, vcc, s16, v2
	v_addc_co_u32_e32 v1, vcc, v3, v7, vcc
	global_load_dword v2, v[0:1], off
	global_load_dword v45, v39, s[12:13] offset:440
	v_add_co_u32_e32 v0, vcc, s14, v0
	v_addc_co_u32_e32 v1, vcc, v1, v4, vcc
	global_load_dword v3, v[0:1], off
	global_load_dword v44, v39, s[12:13] offset:2420
	v_add_co_u32_e32 v0, vcc, s16, v0
	v_addc_co_u32_e32 v1, vcc, v1, v7, vcc
	global_load_dword v8, v[0:1], off
	global_load_dword v43, v39, s[12:13] offset:880
	v_add_co_u32_e32 v0, vcc, s14, v0
	v_addc_co_u32_e32 v1, vcc, v1, v4, vcc
	global_load_dword v9, v[0:1], off
	global_load_dword v42, v39, s[12:13] offset:2860
	v_add_co_u32_e32 v0, vcc, s16, v0
	v_addc_co_u32_e32 v1, vcc, v1, v7, vcc
	global_load_dword v7, v[0:1], off
	global_load_dword v40, v39, s[12:13] offset:3300
	global_load_dword v41, v39, s[12:13] offset:1320
	v_add_co_u32_e32 v0, vcc, s14, v0
	v_addc_co_u32_e32 v1, vcc, v1, v4, vcc
	global_load_dword v4, v[0:1], off
	v_add_co_u32_e32 v16, vcc, s12, v39
	v_addc_co_u32_e32 v17, vcc, 0, v10, vcc
	s_load_dwordx2 s[6:7], s[4:5], 0x38
	s_load_dwordx4 s[8:11], s[2:3], 0x0
	v_cmp_gt_u16_e64 s[0:1], 55, v47
	s_waitcnt vmcnt(14)
	v_lshrrev_b32_e32 v10, 16, v5
	v_mul_f16_sdwa v11, v48, v5 dst_sel:DWORD dst_unused:UNUSED_PAD src0_sel:WORD_1 src1_sel:DWORD
	v_mul_f16_sdwa v12, v48, v10 dst_sel:DWORD dst_unused:UNUSED_PAD src0_sel:WORD_1 src1_sel:DWORD
	v_fma_f16 v10, v48, v10, -v11
	s_waitcnt vmcnt(13)
	v_lshrrev_b32_e32 v11, 16, v6
	s_waitcnt vmcnt(12)
	v_mul_f16_sdwa v13, v46, v6 dst_sel:DWORD dst_unused:UNUSED_PAD src0_sel:WORD_1 src1_sel:DWORD
	v_fma_f16 v5, v48, v5, v12
	v_mul_f16_sdwa v12, v46, v11 dst_sel:DWORD dst_unused:UNUSED_PAD src0_sel:WORD_1 src1_sel:DWORD
	v_fma_f16 v11, v46, v11, -v13
	s_waitcnt vmcnt(11)
	v_lshrrev_b32_e32 v13, 16, v2
	v_pack_b32_f16 v5, v5, v10
	s_waitcnt vmcnt(10)
	v_mul_f16_sdwa v10, v45, v13 dst_sel:DWORD dst_unused:UNUSED_PAD src0_sel:WORD_1 src1_sel:DWORD
	v_fma_f16 v10, v45, v2, v10
	v_mul_f16_sdwa v2, v45, v2 dst_sel:DWORD dst_unused:UNUSED_PAD src0_sel:WORD_1 src1_sel:DWORD
	v_fma_f16 v6, v46, v6, v12
	v_fma_f16 v2, v45, v13, -v2
	v_pack_b32_f16 v6, v6, v11
	v_pack_b32_f16 v2, v10, v2
	ds_write_b32 v39, v6 offset:1980
	ds_write2_b32 v39, v5, v2 offset1:110
	s_waitcnt vmcnt(9)
	v_lshrrev_b32_e32 v2, 16, v3
	s_waitcnt vmcnt(8)
	v_mul_f16_sdwa v5, v44, v2 dst_sel:DWORD dst_unused:UNUSED_PAD src0_sel:WORD_1 src1_sel:DWORD
	v_fma_f16 v5, v44, v3, v5
	v_mul_f16_sdwa v3, v44, v3 dst_sel:DWORD dst_unused:UNUSED_PAD src0_sel:WORD_1 src1_sel:DWORD
	v_fma_f16 v2, v44, v2, -v3
	s_waitcnt vmcnt(7)
	v_lshrrev_b32_e32 v3, 16, v8
	v_pack_b32_f16 v2, v5, v2
	s_waitcnt vmcnt(6)
	v_mul_f16_sdwa v5, v43, v3 dst_sel:DWORD dst_unused:UNUSED_PAD src0_sel:WORD_1 src1_sel:DWORD
	v_mul_f16_sdwa v6, v43, v8 dst_sel:DWORD dst_unused:UNUSED_PAD src0_sel:WORD_1 src1_sel:DWORD
	v_fma_f16 v5, v43, v8, v5
	v_fma_f16 v3, v43, v3, -v6
	v_pack_b32_f16 v3, v5, v3
	s_waitcnt vmcnt(5)
	v_lshrrev_b32_e32 v5, 16, v9
	s_waitcnt vmcnt(4)
	v_mul_f16_sdwa v6, v42, v5 dst_sel:DWORD dst_unused:UNUSED_PAD src0_sel:WORD_1 src1_sel:DWORD
	v_mul_f16_sdwa v8, v42, v9 dst_sel:DWORD dst_unused:UNUSED_PAD src0_sel:WORD_1 src1_sel:DWORD
	v_fma_f16 v6, v42, v9, v6
	v_fma_f16 v5, v42, v5, -v8
	v_pack_b32_f16 v5, v6, v5
	v_add_u32_e32 v6, 0x800, v39
	ds_write2_b32 v6, v2, v5 offset0:93 offset1:203
	s_waitcnt vmcnt(3)
	v_lshrrev_b32_e32 v2, 16, v7
	s_waitcnt vmcnt(1)
	v_mul_f16_sdwa v5, v41, v2 dst_sel:DWORD dst_unused:UNUSED_PAD src0_sel:WORD_1 src1_sel:DWORD
	v_mul_f16_sdwa v6, v41, v7 dst_sel:DWORD dst_unused:UNUSED_PAD src0_sel:WORD_1 src1_sel:DWORD
	v_fma_f16 v5, v41, v7, v5
	v_fma_f16 v2, v41, v2, -v6
	v_pack_b32_f16 v2, v5, v2
	v_add_u32_e32 v6, 0x200, v39
	ds_write2_b32 v6, v3, v2 offset0:92 offset1:202
	s_waitcnt vmcnt(0)
	v_lshrrev_b32_e32 v2, 16, v4
	v_mul_f16_sdwa v3, v40, v2 dst_sel:DWORD dst_unused:UNUSED_PAD src0_sel:WORD_1 src1_sel:DWORD
	v_fma_f16 v3, v40, v4, v3
	v_mul_f16_sdwa v4, v40, v4 dst_sel:DWORD dst_unused:UNUSED_PAD src0_sel:WORD_1 src1_sel:DWORD
	v_fma_f16 v2, v40, v2, -v4
	v_pack_b32_f16 v2, v3, v2
	ds_write_b32 v39, v2 offset:3300
	s_and_saveexec_b64 s[2:3], s[0:1]
	s_cbranch_execz .LBB0_3
; %bb.2:
	v_mov_b32_e32 v2, s17
	v_add_co_u32_e32 v0, vcc, s16, v0
	v_addc_co_u32_e32 v1, vcc, v1, v2, vcc
	global_load_dword v2, v[0:1], off
	global_load_dword v3, v[16:17], off offset:1760
	v_mov_b32_e32 v4, s15
	v_add_co_u32_e32 v0, vcc, s14, v0
	v_addc_co_u32_e32 v1, vcc, v1, v4, vcc
	global_load_dword v4, v[0:1], off
	global_load_dword v5, v[16:17], off offset:3740
	s_waitcnt vmcnt(3)
	v_lshrrev_b32_e32 v0, 16, v2
	s_waitcnt vmcnt(2)
	v_mul_f16_sdwa v1, v3, v2 dst_sel:DWORD dst_unused:UNUSED_PAD src0_sel:WORD_1 src1_sel:DWORD
	v_mul_f16_sdwa v7, v3, v0 dst_sel:DWORD dst_unused:UNUSED_PAD src0_sel:WORD_1 src1_sel:DWORD
	v_fma_f16 v0, v3, v0, -v1
	v_fma_f16 v2, v3, v2, v7
	v_pack_b32_f16 v0, v2, v0
	s_waitcnt vmcnt(1)
	v_lshrrev_b32_e32 v1, 16, v4
	s_waitcnt vmcnt(0)
	v_mul_f16_sdwa v8, v5, v4 dst_sel:DWORD dst_unused:UNUSED_PAD src0_sel:WORD_1 src1_sel:DWORD
	v_mul_f16_sdwa v3, v5, v1 dst_sel:DWORD dst_unused:UNUSED_PAD src0_sel:WORD_1 src1_sel:DWORD
	v_fma_f16 v1, v5, v1, -v8
	v_fma_f16 v2, v5, v4, v3
	ds_write_b32 v39, v0 offset:1760
	v_pack_b32_f16 v0, v2, v1
	ds_write_b32 v39, v0 offset:3740
.LBB0_3:
	s_or_b64 exec, exec, s[2:3]
	v_add_u32_e32 v0, 0x600, v39
	s_waitcnt lgkmcnt(0)
	s_barrier
	ds_read2_b32 v[2:3], v39 offset1:110
	ds_read2_b32 v[4:5], v0 offset0:111 offset1:221
	ds_read2_b32 v[0:1], v6 offset0:92 offset1:202
	v_add_u32_e32 v6, 0xa00, v39
	s_load_dwordx2 s[4:5], s[4:5], 0x8
	ds_read2_b32 v[6:7], v6 offset0:75 offset1:185
                                        ; implicit-def: $vgpr10
                                        ; implicit-def: $vgpr8
	s_and_saveexec_b64 s[2:3], s[0:1]
	s_cbranch_execz .LBB0_5
; %bb.4:
	ds_read_b32 v10, v39 offset:1760
	ds_read_b32 v8, v39 offset:3740
.LBB0_5:
	s_or_b64 exec, exec, s[2:3]
	v_add_co_u32_e32 v15, vcc, 0x6e, v47
	s_movk_i32 s2, 0xdc
	s_waitcnt lgkmcnt(0)
	v_pk_add_f16 v12, v2, v4 neg_lo:[0,1] neg_hi:[0,1]
	v_pk_add_f16 v4, v3, v5 neg_lo:[0,1] neg_hi:[0,1]
	;; [unrolled: 1-line block ×4, first 2 shown]
	v_lshlrev_b16_e32 v7, 1, v47
	v_add_co_u32_e32 v9, vcc, s2, v47
	s_movk_i32 s2, 0x1b8
	v_lshlrev_b32_e32 v50, 2, v7
	v_pk_fma_f16 v11, v2, 2.0, v12 op_sel_hi:[1,0,1] neg_lo:[0,0,1] neg_hi:[0,0,1]
	v_lshlrev_b32_e32 v51, 3, v15
	v_pk_fma_f16 v3, v3, 2.0, v4 op_sel_hi:[1,0,1] neg_lo:[0,0,1] neg_hi:[0,0,1]
	v_add_co_u32_e32 v13, vcc, s2, v47
	s_barrier
	ds_write_b64 v50, v[11:12]
	ds_write_b64 v51, v[3:4]
	v_lshlrev_b32_e32 v52, 3, v9
	v_pk_fma_f16 v4, v0, 2.0, v5 op_sel_hi:[1,0,1] neg_lo:[0,0,1] neg_hi:[0,0,1]
	v_lshlrev_b32_e32 v53, 3, v47
	v_pk_add_f16 v8, v10, v8 neg_lo:[0,1] neg_hi:[0,1]
	ds_write_b64 v52, v[4:5]
	v_pk_fma_f16 v5, v1, 2.0, v6 op_sel_hi:[1,0,1] neg_lo:[0,0,1] neg_hi:[0,0,1]
	v_lshlrev_b32_e32 v49, 3, v13
	ds_write_b64 v53, v[5:6] offset:2640
	s_and_saveexec_b64 s[2:3], s[0:1]
	s_cbranch_execz .LBB0_7
; %bb.6:
	v_pk_fma_f16 v7, v10, 2.0, v8 op_sel_hi:[1,0,1] neg_lo:[0,0,1] neg_hi:[0,0,1]
	ds_write_b64 v49, v[7:8]
.LBB0_7:
	s_or_b64 exec, exec, s[2:3]
	v_and_b32_e32 v10, 1, v47
	v_lshlrev_b32_e32 v0, 3, v10
	s_waitcnt lgkmcnt(0)
	s_barrier
	global_load_dwordx2 v[19:20], v0, s[4:5]
	v_add_u32_e32 v11, 0xa00, v39
	ds_read2_b32 v[0:1], v39 offset1:110
	v_add_u32_e32 v13, 0x600, v39
	v_add_u32_e32 v12, 0x200, v39
	ds_read_b32 v14, v39 offset:3520
	ds_read2_b32 v[2:3], v11 offset0:20 offset1:130
	ds_read2_b32 v[4:5], v13 offset0:56 offset1:166
	;; [unrolled: 1-line block ×3, first 2 shown]
	s_waitcnt lgkmcnt(4)
	v_lshrrev_b32_e32 v22, 16, v0
	v_lshrrev_b32_e32 v23, 16, v1
	s_waitcnt lgkmcnt(2)
	v_lshrrev_b32_e32 v24, 16, v2
	s_waitcnt lgkmcnt(1)
	;; [unrolled: 2-line block ×3, first 2 shown]
	v_lshrrev_b32_e32 v28, 16, v7
	v_lshrrev_b32_e32 v27, 16, v5
	;; [unrolled: 1-line block ×5, first 2 shown]
	s_movk_i32 s2, 0x3aee
	s_mov_b32 s3, 0xbaee
	s_waitcnt vmcnt(0)
	s_barrier
	s_mov_b32 s14, 0xaaab
	v_mul_f16_sdwa v38, v7, v19 dst_sel:DWORD dst_unused:UNUSED_PAD src0_sel:DWORD src1_sel:WORD_1
	v_mul_f16_sdwa v54, v28, v19 dst_sel:DWORD dst_unused:UNUSED_PAD src0_sel:DWORD src1_sel:WORD_1
	;; [unrolled: 1-line block ×6, first 2 shown]
	v_fma_f16 v28, v28, v19, v38
	v_fma_f16 v7, v7, v19, -v54
	v_mul_f16_sdwa v33, v4, v19 dst_sel:DWORD dst_unused:UNUSED_PAD src0_sel:DWORD src1_sel:WORD_1
	v_mul_f16_sdwa v36, v27, v19 dst_sel:DWORD dst_unused:UNUSED_PAD src0_sel:DWORD src1_sel:WORD_1
	v_fma_f16 v2, v2, v20, -v30
	v_fma_f16 v4, v4, v19, -v32
	v_fma_f16 v24, v24, v20, v31
	v_fma_f16 v27, v27, v19, v37
	v_add_f16_e32 v32, v0, v7
	v_add_f16_e32 v37, v22, v28
	v_mul_f16_sdwa v35, v3, v20 dst_sel:DWORD dst_unused:UNUSED_PAD src0_sel:DWORD src1_sel:WORD_1
	v_mul_f16_sdwa v56, v14, v20 dst_sel:DWORD dst_unused:UNUSED_PAD src0_sel:DWORD src1_sel:WORD_1
	v_fma_f16 v5, v5, v19, -v36
	v_add_f16_e32 v30, v7, v2
	v_sub_f16_e32 v7, v7, v2
	v_sub_f16_e32 v36, v28, v24
	v_add_f16_e32 v28, v28, v24
	v_add_f16_e32 v2, v32, v2
	;; [unrolled: 1-line block ×3, first 2 shown]
	v_mul_f16_sdwa v34, v26, v20 dst_sel:DWORD dst_unused:UNUSED_PAD src0_sel:DWORD src1_sel:WORD_1
	v_mul_f16_sdwa v55, v21, v20 dst_sel:DWORD dst_unused:UNUSED_PAD src0_sel:DWORD src1_sel:WORD_1
	v_fma_f16 v25, v25, v19, v33
	v_fma_f16 v26, v26, v20, v35
	;; [unrolled: 1-line block ×3, first 2 shown]
	v_pack_b32_f16 v2, v2, v24
	v_lshrrev_b32_e32 v24, 1, v47
	v_fma_f16 v14, v14, v20, -v55
	v_sub_f16_e32 v38, v25, v26
	v_add_f16_e32 v54, v23, v25
	v_add_f16_e32 v25, v25, v26
	v_sub_f16_e32 v55, v27, v21
	v_add_f16_e32 v56, v29, v27
	v_add_f16_e32 v27, v27, v21
	v_fma_f16 v0, v30, -0.5, v0
	v_fma_f16 v22, v28, -0.5, v22
	v_mul_u32_u24_e32 v24, 6, v24
	v_fma_f16 v23, v25, -0.5, v23
	v_fma_f16 v25, v27, -0.5, v29
	v_fma_f16 v27, v36, s2, v0
	v_fma_f16 v0, v36, s3, v0
	;; [unrolled: 1-line block ×4, first 2 shown]
	v_or_b32_e32 v24, v24, v10
	v_fma_f16 v3, v3, v20, -v34
	v_add_f16_e32 v26, v54, v26
	v_lshlrev_b32_e32 v54, 2, v24
	v_pack_b32_f16 v0, v0, v7
	v_add_f16_e32 v31, v4, v3
	ds_write_b32 v54, v0 offset:16
	v_lshrrev_b32_e32 v0, 1, v15
	v_add_f16_e32 v33, v1, v4
	v_add_f16_e32 v34, v5, v14
	v_sub_f16_e32 v4, v4, v3
	v_fma_f16 v1, v31, -0.5, v1
	v_mul_u32_u24_e32 v0, 6, v0
	v_add_f16_e32 v35, v6, v5
	v_fma_f16 v6, v34, -0.5, v6
	v_add_f16_e32 v3, v33, v3
	v_fma_f16 v22, v38, s2, v1
	v_fma_f16 v29, v4, s3, v23
	v_pack_b32_f16 v24, v27, v28
	v_or_b32_e32 v0, v0, v10
	v_fma_f16 v1, v38, s3, v1
	v_fma_f16 v4, v4, s2, v23
	v_fma_f16 v23, v55, s2, v6
	v_fma_f16 v6, v55, s3, v6
	ds_write2_b32 v54, v2, v24 offset1:2
	v_lshlrev_b32_e32 v55, 2, v0
	v_pack_b32_f16 v0, v3, v26
	v_pack_b32_f16 v2, v22, v29
	ds_write2_b32 v55, v0, v2 offset1:2
	v_pack_b32_f16 v0, v1, v4
	ds_write_b32 v55, v0 offset:16
	v_lshrrev_b32_e32 v0, 1, v9
	v_sub_f16_e32 v5, v5, v14
	v_mul_u32_u24_e32 v0, 6, v0
	v_add_f16_e32 v21, v56, v21
	v_add_f16_e32 v30, v35, v14
	v_fma_f16 v14, v5, s3, v25
	v_or_b32_e32 v0, v0, v10
	v_fma_f16 v5, v5, s2, v25
	v_lshlrev_b32_e32 v56, 2, v0
	v_pack_b32_f16 v0, v30, v21
	v_pack_b32_f16 v1, v23, v14
	ds_write2_b32 v56, v0, v1 offset1:2
	v_pack_b32_f16 v0, v6, v5
	ds_write_b32 v56, v0 offset:16
	v_mul_u32_u24_sdwa v0, v9, s14 dst_sel:DWORD dst_unused:UNUSED_PAD src0_sel:WORD_0 src1_sel:DWORD
	v_lshrrev_b32_e32 v14, 18, v0
	v_mul_lo_u16_e32 v0, 6, v14
	v_sub_u16_e32 v27, v9, v0
	s_movk_i32 s14, 0xab
	v_lshlrev_b16_e32 v0, 3, v27
	v_mul_lo_u16_sdwa v2, v47, s14 dst_sel:DWORD dst_unused:UNUSED_PAD src0_sel:BYTE_0 src1_sel:DWORD
	v_mov_b32_e32 v1, s5
	v_add_co_u32_e32 v0, vcc, s4, v0
	v_lshrrev_b16_e32 v9, 10, v2
	v_addc_co_u32_e32 v1, vcc, 0, v1, vcc
	v_mul_lo_u16_e32 v2, 6, v9
	s_waitcnt lgkmcnt(0)
	s_barrier
	global_load_dwordx2 v[21:22], v[0:1], off offset:16
	v_sub_u16_e32 v0, v47, v2
	v_and_b32_e32 v10, 0xff, v0
	v_lshlrev_b32_e32 v0, 3, v10
	global_load_dwordx2 v[25:26], v0, s[4:5] offset:16
	v_mul_lo_u16_sdwa v0, v15, s14 dst_sel:DWORD dst_unused:UNUSED_PAD src0_sel:BYTE_0 src1_sel:DWORD
	v_lshrrev_b16_e32 v28, 10, v0
	v_mul_lo_u16_e32 v0, 6, v28
	v_sub_u16_e32 v0, v15, v0
	v_and_b32_e32 v29, 0xff, v0
	v_lshlrev_b32_e32 v0, 3, v29
	global_load_dwordx2 v[23:24], v0, s[4:5] offset:16
	ds_read2_b32 v[0:1], v13 offset0:56 offset1:166
	ds_read_b32 v30, v39 offset:3520
	ds_read2_b32 v[2:3], v12 offset0:92 offset1:202
	ds_read2_b32 v[4:5], v11 offset0:20 offset1:130
	ds_read2_b32 v[6:7], v39 offset1:110
	s_waitcnt lgkmcnt(4)
	v_lshrrev_b32_e32 v11, 16, v1
	s_waitcnt lgkmcnt(3)
	v_lshrrev_b32_e32 v12, 16, v30
	;; [unrolled: 2-line block ×4, first 2 shown]
	s_waitcnt vmcnt(0)
	s_barrier
	v_mul_f16_sdwa v32, v11, v21 dst_sel:DWORD dst_unused:UNUSED_PAD src0_sel:DWORD src1_sel:WORD_1
	v_mul_f16_sdwa v34, v12, v22 dst_sel:DWORD dst_unused:UNUSED_PAD src0_sel:DWORD src1_sel:WORD_1
	;; [unrolled: 1-line block ×4, first 2 shown]
	v_fma_f16 v1, v1, v21, -v32
	v_fma_f16 v30, v30, v22, -v34
	v_fma_f16 v32, v11, v21, v33
	v_fma_f16 v33, v12, v22, v35
	v_add_f16_e32 v11, v1, v30
	v_mul_f16_sdwa v36, v3, v25 dst_sel:DWORD dst_unused:UNUSED_PAD src0_sel:DWORD src1_sel:WORD_1
	v_sub_f16_e32 v12, v32, v33
	v_fma_f16 v34, v11, -0.5, v2
	v_fma_f16 v11, v12, s2, v34
	v_fma_f16 v12, v12, s3, v34
	;; [unrolled: 1-line block ×3, first 2 shown]
	v_lshrrev_b32_e32 v35, 16, v4
	v_mul_f16_sdwa v31, v31, v25 dst_sel:DWORD dst_unused:UNUSED_PAD src0_sel:DWORD src1_sel:WORD_1
	v_mul_f16_sdwa v36, v4, v26 dst_sel:DWORD dst_unused:UNUSED_PAD src0_sel:DWORD src1_sel:WORD_1
	v_fma_f16 v3, v3, v25, -v31
	v_mul_f16_sdwa v31, v35, v26 dst_sel:DWORD dst_unused:UNUSED_PAD src0_sel:DWORD src1_sel:WORD_1
	v_fma_f16 v36, v35, v26, v36
	v_fma_f16 v4, v4, v26, -v31
	v_add_f16_e32 v38, v37, v34
	v_sub_f16_e32 v57, v34, v36
	v_add_f16_e32 v34, v34, v36
	v_add_f16_e32 v31, v6, v3
	;; [unrolled: 1-line block ×3, first 2 shown]
	v_fma_f16 v34, v34, -0.5, v37
	v_add_f16_e32 v31, v31, v4
	v_sub_f16_e32 v3, v3, v4
	v_mul_u32_u24_e32 v4, 18, v9
	v_fma_f16 v6, v35, -0.5, v6
	v_add_f16_e32 v38, v38, v36
	v_add_lshl_u32 v59, v4, v10, 2
	v_fma_f16 v9, v57, s2, v6
	v_fma_f16 v10, v3, s3, v34
	v_pack_b32_f16 v4, v31, v38
	v_pack_b32_f16 v9, v9, v10
	ds_write2_b32 v59, v4, v9 offset1:6
	v_lshrrev_b32_e32 v4, 16, v0
	v_mul_f16_sdwa v9, v4, v23 dst_sel:DWORD dst_unused:UNUSED_PAD src0_sel:DWORD src1_sel:WORD_1
	v_fma_f16 v9, v0, v23, -v9
	v_mul_f16_sdwa v0, v0, v23 dst_sel:DWORD dst_unused:UNUSED_PAD src0_sel:DWORD src1_sel:WORD_1
	v_fma_f16 v0, v4, v23, v0
	v_lshrrev_b32_e32 v4, 16, v5
	v_mul_f16_sdwa v10, v4, v24 dst_sel:DWORD dst_unused:UNUSED_PAD src0_sel:DWORD src1_sel:WORD_1
	v_fma_f16 v10, v5, v24, -v10
	v_mul_f16_sdwa v5, v5, v24 dst_sel:DWORD dst_unused:UNUSED_PAD src0_sel:DWORD src1_sel:WORD_1
	v_fma_f16 v4, v4, v24, v5
	v_fma_f16 v5, v57, s3, v6
	v_add_f16_e32 v6, v9, v10
	v_lshrrev_b32_e32 v31, 16, v7
	v_fma_f16 v3, v3, s2, v34
	v_fma_f16 v6, v6, -0.5, v7
	v_add_f16_e32 v7, v7, v9
	v_add_f16_e32 v34, v31, v0
	v_sub_f16_e32 v35, v0, v4
	v_add_f16_e32 v0, v0, v4
	v_add_f16_e32 v34, v34, v4
	v_fma_f16 v0, v0, -0.5, v31
	v_add_f16_e32 v4, v7, v10
	v_sub_f16_e32 v7, v9, v10
	v_pack_b32_f16 v3, v5, v3
	v_fma_f16 v5, v7, s3, v0
	v_fma_f16 v62, v7, s2, v0
	v_lshrrev_b32_e32 v0, 16, v2
	v_add_f16_e32 v2, v2, v1
	ds_write_b32 v59, v3 offset:48
	v_mul_u32_u24_e32 v3, 18, v28
	v_add_f16_e32 v10, v2, v30
	v_add_f16_e32 v2, v0, v32
	v_add_lshl_u32 v60, v3, v29, 2
	v_add_f16_e32 v29, v2, v33
	v_add_f16_e32 v2, v32, v33
	v_fma_f16 v9, v35, s3, v6
	v_fma_f16 v0, v2, -0.5, v0
	v_sub_f16_e32 v1, v1, v30
	v_fma_f16 v31, v1, s3, v0
	v_fma_f16 v30, v1, s2, v0
	v_pack_b32_f16 v0, v9, v62
	v_pack_b32_f16 v3, v4, v34
	v_fma_f16 v4, v35, s2, v6
	ds_write_b32 v60, v0 offset:48
	v_mad_legacy_u16 v0, v14, 18, v27
	v_pack_b32_f16 v4, v4, v5
	v_lshlrev_b32_e32 v61, 2, v0
	v_pack_b32_f16 v0, v10, v29
	v_pack_b32_f16 v1, v11, v31
	ds_write2_b32 v60, v3, v4 offset1:6
	ds_write2_b32 v61, v0, v1 offset1:6
	v_pack_b32_f16 v0, v12, v30
	ds_write_b32 v61, v0 offset:48
	s_waitcnt lgkmcnt(0)
	s_barrier
	ds_read2_b32 v[27:28], v13 offset0:12 offset1:210
	ds_read_b32 v32, v39 offset:3168
	ds_read2_b32 v[13:14], v39 offset1:198
	s_movk_i32 s2, 0x58
	v_cmp_gt_u16_e32 vcc, s2, v47
	s_and_saveexec_b64 s[2:3], vcc
	s_cbranch_execz .LBB0_9
; %bb.8:
	v_add_u32_e32 v0, 0x100, v39
	ds_read2_b32 v[9:10], v0 offset0:46 offset1:244
	v_add_u32_e32 v0, 0x780, v39
	ds_read2_b32 v[11:12], v0 offset0:26 offset1:224
	ds_read_b32 v8, v39 offset:3608
	s_waitcnt lgkmcnt(2)
	v_lshrrev_b32_e32 v62, 16, v9
	v_lshrrev_b32_e32 v29, 16, v10
	s_waitcnt lgkmcnt(1)
	v_lshrrev_b32_e32 v31, 16, v11
	v_lshrrev_b32_e32 v30, 16, v12
.LBB0_9:
	s_or_b64 exec, exec, s[2:3]
	v_mov_b32_e32 v4, 57
	v_mul_lo_u16_sdwa v0, v47, v4 dst_sel:DWORD dst_unused:UNUSED_PAD src0_sel:BYTE_0 src1_sel:DWORD
	v_lshrrev_b16_e32 v70, 10, v0
	v_mul_lo_u16_sdwa v4, v15, v4 dst_sel:DWORD dst_unused:UNUSED_PAD src0_sel:BYTE_0 src1_sel:DWORD
	v_mul_lo_u16_e32 v0, 18, v70
	v_lshrrev_b16_e32 v57, 10, v4
	v_sub_u16_e32 v0, v47, v0
	v_mul_lo_u16_e32 v4, 18, v57
	v_and_b32_e32 v72, 0xff, v0
	v_sub_u16_e32 v4, v15, v4
	v_lshlrev_b32_e32 v0, 4, v72
	v_and_b32_e32 v58, 0xff, v4
	global_load_dwordx4 v[0:3], v0, s[4:5] offset:64
	v_lshlrev_b32_e32 v4, 4, v58
	global_load_dwordx4 v[4:7], v4, s[4:5] offset:64
	s_waitcnt lgkmcnt(0)
	v_lshrrev_b32_e32 v33, 16, v14
	v_lshrrev_b32_e32 v34, 16, v27
	v_lshrrev_b32_e32 v35, 16, v28
	v_lshrrev_b32_e32 v36, 16, v32
	v_lshrrev_b32_e32 v15, 16, v13
	v_lshrrev_b32_e32 v37, 16, v8
	s_movk_i32 s2, 0x3b9c
	s_mov_b32 s15, 0xbb9c
	s_movk_i32 s3, 0x38b4
	s_mov_b32 s16, 0xb8b4
	s_movk_i32 s14, 0x34f2
	s_waitcnt vmcnt(0)
	s_barrier
	v_mul_f16_sdwa v38, v33, v0 dst_sel:DWORD dst_unused:UNUSED_PAD src0_sel:DWORD src1_sel:WORD_1
	v_mul_f16_sdwa v64, v34, v1 dst_sel:DWORD dst_unused:UNUSED_PAD src0_sel:DWORD src1_sel:WORD_1
	;; [unrolled: 1-line block ×12, first 2 shown]
	v_fma_f16 v14, v14, v0, -v38
	v_fma_f16 v27, v27, v1, -v64
	;; [unrolled: 1-line block ×4, first 2 shown]
	v_mul_f16_sdwa v71, v29, v4 dst_sel:DWORD dst_unused:UNUSED_PAD src0_sel:DWORD src1_sel:WORD_1
	v_mul_f16_sdwa v76, v30, v6 dst_sel:DWORD dst_unused:UNUSED_PAD src0_sel:DWORD src1_sel:WORD_1
	;; [unrolled: 1-line block ×3, first 2 shown]
	v_fma_f16 v38, v33, v0, v63
	v_fma_f16 v34, v34, v1, v65
	;; [unrolled: 1-line block ×5, first 2 shown]
	v_fma_f16 v11, v11, v5, -v74
	v_fma_f16 v74, v31, v5, v75
	v_fma_f16 v75, v30, v6, v77
	v_add_f16_e32 v29, v13, v14
	v_add_f16_e32 v30, v27, v28
	;; [unrolled: 1-line block ×3, first 2 shown]
	v_mul_f16_sdwa v78, v37, v7 dst_sel:DWORD dst_unused:UNUSED_PAD src0_sel:DWORD src1_sel:WORD_1
	v_fma_f16 v12, v12, v6, -v76
	v_fma_f16 v76, v37, v7, v79
	v_sub_f16_e32 v31, v38, v36
	v_sub_f16_e32 v33, v34, v35
	;; [unrolled: 1-line block ×6, first 2 shown]
	v_add_f16_e32 v67, v15, v38
	v_add_f16_e32 v29, v29, v27
	v_fma_f16 v30, v30, -0.5, v13
	v_fma_f16 v13, v64, -0.5, v13
	v_add_f16_e32 v68, v34, v35
	v_add_f16_e32 v37, v37, v63
	;; [unrolled: 1-line block ×5, first 2 shown]
	v_fma_f16 v66, v31, s2, v30
	v_fma_f16 v30, v31, s15, v30
	;; [unrolled: 1-line block ×4, first 2 shown]
	v_sub_f16_e32 v14, v14, v32
	v_fma_f16 v65, v68, -0.5, v15
	v_add_f16_e32 v29, v29, v32
	v_fma_f16 v32, v33, s3, v66
	v_fma_f16 v33, v33, s16, v30
	v_fma_f16 v13, v31, s16, v13
	v_fma_f16 v68, v14, s15, v65
	v_fma_f16 v30, v37, s14, v32
	v_fma_f16 v33, v37, s14, v33
	v_fma_f16 v32, v64, s14, v13
	v_sub_f16_e32 v13, v27, v28
	v_sub_f16_e32 v28, v38, v34
	;; [unrolled: 1-line block ×3, first 2 shown]
	v_fma_f16 v66, v31, s3, v67
	v_fma_f16 v27, v13, s16, v68
	v_add_f16_e32 v28, v28, v37
	v_fma_f16 v31, v64, s14, v66
	v_fma_f16 v64, v28, s14, v27
	;; [unrolled: 1-line block ×5, first 2 shown]
	v_add_f16_e32 v27, v38, v36
	v_fma_f16 v15, v27, -0.5, v15
	v_fma_f16 v27, v13, s2, v15
	v_sub_f16_e32 v28, v34, v38
	v_sub_f16_e32 v34, v35, v36
	v_fma_f16 v13, v13, s15, v15
	v_fma_f16 v10, v10, v4, -v71
	v_add_f16_e32 v28, v28, v34
	v_fma_f16 v13, v14, s3, v13
	v_fma_f16 v67, v28, s14, v13
	v_add_f16_e32 v13, v9, v10
	v_add_f16_e32 v13, v13, v11
	v_fma_f16 v8, v8, v7, -v78
	v_add_f16_e32 v13, v13, v12
	v_add_f16_e32 v34, v13, v8
	;; [unrolled: 1-line block ×3, first 2 shown]
	v_fma_f16 v27, v14, s16, v27
	v_fma_f16 v13, v13, -0.5, v9
	v_sub_f16_e32 v14, v73, v76
	v_add_f16_e32 v63, v63, v35
	v_fma_f16 v66, v28, s14, v27
	v_fma_f16 v15, v14, s2, v13
	v_sub_f16_e32 v27, v74, v75
	v_sub_f16_e32 v28, v10, v11
	;; [unrolled: 1-line block ×3, first 2 shown]
	v_fma_f16 v13, v14, s15, v13
	v_add_f16_e32 v28, v28, v35
	v_fma_f16 v13, v27, s16, v13
	v_fma_f16 v38, v28, s14, v13
	v_add_f16_e32 v13, v10, v8
	v_fma_f16 v15, v27, s3, v15
	v_fma_f16 v9, v13, -0.5, v9
	v_fma_f16 v35, v28, s14, v15
	v_fma_f16 v13, v27, s15, v9
	v_sub_f16_e32 v15, v11, v10
	v_sub_f16_e32 v28, v12, v8
	v_fma_f16 v9, v27, s2, v9
	v_add_f16_e32 v15, v15, v28
	v_fma_f16 v9, v14, s16, v9
	v_fma_f16 v37, v15, s14, v9
	v_add_f16_e32 v9, v62, v73
	v_add_f16_e32 v9, v9, v74
	;; [unrolled: 1-line block ×5, first 2 shown]
	v_fma_f16 v13, v14, s3, v13
	v_fma_f16 v9, v9, -0.5, v62
	v_sub_f16_e32 v8, v10, v8
	v_add_f16_e32 v63, v63, v36
	v_fma_f16 v36, v15, s14, v13
	v_fma_f16 v10, v8, s15, v9
	v_sub_f16_e32 v11, v11, v12
	v_sub_f16_e32 v12, v73, v74
	;; [unrolled: 1-line block ×3, first 2 shown]
	v_fma_f16 v9, v8, s2, v9
	v_add_f16_e32 v12, v12, v13
	v_fma_f16 v9, v11, s3, v9
	v_fma_f16 v69, v12, s14, v9
	v_add_f16_e32 v9, v73, v76
	v_fma_f16 v10, v11, s16, v10
	v_fma_f16 v9, v9, -0.5, v62
	v_fma_f16 v71, v12, s14, v10
	v_fma_f16 v10, v11, s2, v9
	v_sub_f16_e32 v12, v74, v73
	v_sub_f16_e32 v13, v75, v76
	v_fma_f16 v9, v11, s15, v9
	v_fma_f16 v10, v8, s16, v10
	v_add_f16_e32 v12, v12, v13
	v_fma_f16 v8, v8, s3, v9
	v_fma_f16 v79, v12, s14, v8
	v_mul_u32_u24_e32 v8, 0x5a, v70
	v_add_lshl_u32 v62, v8, v72, 2
	v_pack_b32_f16 v8, v29, v63
	v_pack_b32_f16 v9, v30, v64
	ds_write2_b32 v62, v8, v9 offset1:18
	v_pack_b32_f16 v8, v31, v66
	v_pack_b32_f16 v9, v32, v67
	v_fma_f16 v78, v12, s14, v10
	s_movk_i32 s14, 0x5a
	ds_write2_b32 v62, v8, v9 offset0:36 offset1:54
	v_pack_b32_f16 v8, v33, v65
	ds_write_b32 v62, v8 offset:288
	s_and_saveexec_b64 s[2:3], vcc
	s_cbranch_execz .LBB0_11
; %bb.10:
	v_mul_u32_u24_e32 v8, 0x5a, v57
	s_mov_b32 s15, 0x5040100
	v_add_lshl_u32 v8, v8, v58, 2
	v_perm_b32 v9, v68, v34, s15
	v_perm_b32 v10, v71, v35, s15
	ds_write2_b32 v8, v9, v10 offset1:18
	v_perm_b32 v9, v78, v36, s15
	v_perm_b32 v10, v79, v37, s15
	ds_write2_b32 v8, v9, v10 offset0:36 offset1:54
	v_perm_b32 v9, v69, v38, s15
	ds_write_b32 v8, v9 offset:288
.LBB0_11:
	s_or_b64 exec, exec, s[2:3]
	v_cmp_gt_u16_e64 s[2:3], s14, v47
	s_waitcnt lgkmcnt(0)
	s_barrier
	s_waitcnt lgkmcnt(0)
                                        ; implicit-def: $vgpr80
                                        ; implicit-def: $vgpr81
	s_and_saveexec_b64 s[14:15], s[2:3]
	s_cbranch_execz .LBB0_13
; %bb.12:
	v_add_u32_e32 v8, 0x200, v39
	ds_read2_b32 v[31:32], v8 offset0:52 offset1:142
	v_add_u32_e32 v8, 0x400, v39
	ds_read2_b32 v[33:34], v8 offset0:104 offset1:194
	;; [unrolled: 2-line block ×3, first 2 shown]
	v_add_u32_e32 v8, 0xa00, v39
	ds_read2_b32 v[29:30], v39 offset1:90
	ds_read2_b32 v[37:38], v8 offset0:80 offset1:170
	ds_read_b32 v80, v39 offset:3600
	s_waitcnt lgkmcnt(5)
	v_lshrrev_b32_e32 v66, 16, v31
	v_lshrrev_b32_e32 v67, 16, v32
	s_waitcnt lgkmcnt(2)
	v_lshrrev_b32_e32 v63, 16, v29
	v_lshrrev_b32_e32 v64, 16, v30
	;; [unrolled: 1-line block ×6, first 2 shown]
	s_waitcnt lgkmcnt(1)
	v_lshrrev_b32_e32 v79, 16, v37
	v_lshrrev_b32_e32 v69, 16, v38
	s_waitcnt lgkmcnt(0)
	v_lshrrev_b32_e32 v81, 16, v80
.LBB0_13:
	s_or_b64 exec, exec, s[14:15]
	v_add_u32_e32 v8, 0xffffffa6, v47
	v_cndmask_b32_e64 v8, v8, v47, s[2:3]
	v_mul_hi_i32_i24_e32 v9, 40, v8
	v_mul_i32_i24_e32 v8, 40, v8
	v_mov_b32_e32 v10, s5
	v_add_co_u32_e64 v72, s[4:5], s4, v8
	v_addc_co_u32_e64 v73, s[4:5], v10, v9, s[4:5]
	global_load_dwordx4 v[8:11], v[72:73], off offset:352
	global_load_dwordx4 v[12:15], v[72:73], off offset:368
	global_load_dwordx2 v[27:28], v[72:73], off offset:384
	s_movk_i32 s14, 0x3abb
	s_movk_i32 s15, 0x36a6
	s_mov_b32 s16, 0xb08e
	s_mov_b32 s17, 0xb93d
	;; [unrolled: 1-line block ×7, first 2 shown]
	s_movk_i32 s27, 0x3482
	s_movk_i32 s20, 0x3b47
	;; [unrolled: 1-line block ×3, first 2 shown]
	s_mov_b32 s21, 0xb482
	s_movk_i32 s25, 0x3853
	s_waitcnt vmcnt(2)
	v_mul_f16_sdwa v70, v64, v8 dst_sel:DWORD dst_unused:UNUSED_PAD src0_sel:DWORD src1_sel:WORD_1
	v_mul_f16_sdwa v72, v30, v8 dst_sel:DWORD dst_unused:UNUSED_PAD src0_sel:DWORD src1_sel:WORD_1
	;; [unrolled: 1-line block ×5, first 2 shown]
	s_waitcnt vmcnt(1)
	v_mul_f16_sdwa v85, v71, v13 dst_sel:DWORD dst_unused:UNUSED_PAD src0_sel:DWORD src1_sel:WORD_1
	v_mul_f16_sdwa v86, v35, v13 dst_sel:DWORD dst_unused:UNUSED_PAD src0_sel:DWORD src1_sel:WORD_1
	s_waitcnt vmcnt(0)
	v_mul_f16_sdwa v94, v80, v28 dst_sel:DWORD dst_unused:UNUSED_PAD src0_sel:DWORD src1_sel:WORD_1
	v_mul_f16_sdwa v74, v31, v9 dst_sel:DWORD dst_unused:UNUSED_PAD src0_sel:DWORD src1_sel:WORD_1
	;; [unrolled: 1-line block ×4, first 2 shown]
	v_fma_f16 v70, v30, v8, -v70
	v_fma_f16 v30, v64, v8, v72
	v_fma_f16 v72, v31, v9, -v73
	v_fma_f16 v73, v32, v10, -v75
	v_fma_f16 v32, v67, v10, v76
	v_fma_f16 v76, v35, v13, -v85
	v_fma_f16 v35, v71, v13, v86
	v_fma_f16 v71, v81, v28, v94
	v_mul_f16_sdwa v83, v68, v12 dst_sel:DWORD dst_unused:UNUSED_PAD src0_sel:DWORD src1_sel:WORD_1
	v_mul_f16_sdwa v84, v34, v12 dst_sel:DWORD dst_unused:UNUSED_PAD src0_sel:DWORD src1_sel:WORD_1
	;; [unrolled: 1-line block ×4, first 2 shown]
	v_fma_f16 v31, v66, v9, v74
	v_fma_f16 v69, v69, v27, v92
	v_fma_f16 v80, v80, v28, -v93
	v_sub_f16_e32 v109, v30, v71
	v_mul_f16_sdwa v77, v65, v11 dst_sel:DWORD dst_unused:UNUSED_PAD src0_sel:DWORD src1_sel:WORD_1
	v_mul_f16_sdwa v82, v33, v11 dst_sel:DWORD dst_unused:UNUSED_PAD src0_sel:DWORD src1_sel:WORD_1
	;; [unrolled: 1-line block ×5, first 2 shown]
	v_fma_f16 v75, v34, v12, -v83
	v_fma_f16 v34, v68, v12, v84
	v_fma_f16 v68, v79, v15, v90
	v_fma_f16 v79, v38, v27, -v91
	v_add_f16_e32 v92, v70, v80
	v_sub_f16_e32 v96, v70, v80
	v_sub_f16_e32 v110, v31, v69
	v_mul_f16_e32 v81, 0xb853, v109
	v_fma_f16 v74, v33, v11, -v77
	v_fma_f16 v33, v65, v11, v82
	v_fma_f16 v77, v36, v14, -v87
	v_fma_f16 v36, v78, v14, v88
	v_fma_f16 v78, v37, v15, -v89
	v_add_f16_e32 v113, v30, v71
	v_add_f16_e32 v93, v72, v79
	v_sub_f16_e32 v98, v72, v79
	v_mul_f16_e32 v87, 0xbb47, v96
	v_mul_f16_e32 v82, 0xbb47, v110
	v_fma_f16 v37, v92, s14, v81
	v_add_f16_e32 v116, v31, v69
	v_mul_f16_e32 v90, 0xbbeb, v109
	v_mul_f16_e32 v88, 0xba0c, v98
	v_fma_f16 v65, v113, s15, -v87
	v_fma_f16 v89, v93, s15, v82
	v_add_f16_e32 v37, v29, v37
	v_mul_f16_e32 v94, 0xbbeb, v96
	v_fma_f16 v66, v92, s16, v90
	v_add_f16_e32 v65, v63, v65
	v_add_f16_e32 v37, v89, v37
	v_fma_f16 v89, v116, s17, -v88
	v_mul_f16_e32 v99, 0x3482, v110
	v_mul_f16_e32 v83, 0xb853, v96
	;; [unrolled: 1-line block ×3, first 2 shown]
	v_fma_f16 v67, v113, s16, -v94
	v_add_f16_e32 v66, v29, v66
	v_add_f16_e32 v65, v89, v65
	v_mul_f16_e32 v102, 0x3482, v98
	v_fma_f16 v89, v93, s18, v99
	v_mul_f16_e32 v84, 0xbb47, v98
	v_mul_f16_e32 v86, 0xba0c, v110
	v_fma_f16 v38, v113, s14, -v83
	v_fma_f16 v64, v92, s15, v85
	v_add_f16_e32 v67, v63, v67
	v_add_f16_e32 v66, v89, v66
	v_fma_f16 v89, v116, s18, -v102
	v_sub_f16_e32 v123, v32, v68
	v_fma_f16 v91, v116, s15, -v84
	v_fma_f16 v95, v93, s17, v86
	v_add_f16_e32 v38, v63, v38
	v_add_f16_e32 v64, v29, v64
	;; [unrolled: 1-line block ×4, first 2 shown]
	v_sub_f16_e32 v112, v73, v78
	v_mul_f16_e32 v89, 0xbbeb, v123
	v_add_f16_e32 v38, v91, v38
	v_add_f16_e32 v64, v95, v64
	;; [unrolled: 1-line block ×3, first 2 shown]
	v_mul_f16_e32 v91, 0xbbeb, v112
	v_fma_f16 v95, v106, s16, v89
	v_add_f16_e32 v37, v95, v37
	v_fma_f16 v95, v124, s16, -v91
	v_mul_f16_e32 v97, 0x3482, v123
	v_add_f16_e32 v38, v95, v38
	v_mul_f16_e32 v101, 0x3482, v112
	v_fma_f16 v95, v106, s18, v97
	v_add_f16_e32 v64, v95, v64
	v_fma_f16 v95, v124, s18, -v101
	v_mul_f16_e32 v105, 0x3b47, v123
	v_add_f16_e32 v65, v95, v65
	v_mul_f16_e32 v111, 0x3b47, v112
	v_fma_f16 v95, v106, s15, v105
	v_add_f16_e32 v66, v95, v66
	v_fma_f16 v95, v124, s15, -v111
	v_sub_f16_e32 v127, v33, v36
	v_add_f16_e32 v67, v95, v67
	v_add_f16_e32 v117, v74, v77
	v_sub_f16_e32 v120, v74, v77
	v_mul_f16_e32 v95, 0xba0c, v127
	v_add_f16_e32 v128, v33, v36
	v_mul_f16_e32 v100, 0xba0c, v120
	v_fma_f16 v103, v117, s17, v95
	v_add_f16_e32 v37, v103, v37
	v_fma_f16 v103, v128, s17, -v100
	v_mul_f16_e32 v104, 0x3beb, v127
	v_add_f16_e32 v38, v103, v38
	v_mul_f16_e32 v107, 0x3beb, v120
	v_fma_f16 v103, v117, s16, v104
	v_add_f16_e32 v64, v103, v64
	v_fma_f16 v103, v128, s16, -v107
	v_mul_f16_e32 v114, 0xb853, v127
	v_add_f16_e32 v65, v103, v65
	v_fma_f16 v103, v117, s14, v114
	v_mul_f16_e32 v118, 0xb853, v120
	v_sub_f16_e32 v129, v34, v35
	v_add_f16_e32 v125, v103, v66
	v_fma_f16 v66, v128, s14, -v118
	v_add_f16_e32 v121, v75, v76
	v_mul_f16_e32 v103, 0xb482, v129
	v_sub_f16_e32 v126, v75, v76
	v_add_f16_e32 v131, v66, v67
	v_fma_f16 v66, v121, s18, v103
	v_add_f16_e32 v130, v34, v35
	v_mul_f16_e32 v108, 0xb482, v126
	v_add_f16_e32 v37, v66, v37
	v_fma_f16 v66, v130, s18, -v108
	v_mul_f16_e32 v115, 0x3853, v129
	v_add_f16_e32 v38, v66, v38
	v_fma_f16 v66, v121, s14, v115
	v_mul_f16_e32 v119, 0x3853, v126
	v_add_f16_e32 v66, v66, v64
	v_fma_f16 v64, v130, s14, -v119
	v_mul_f16_e32 v122, 0xba0c, v129
	v_add_f16_e32 v67, v64, v65
	v_fma_f16 v64, v121, s17, v122
	v_add_f16_e32 v64, v64, v125
	v_mul_f16_e32 v125, 0xba0c, v126
	v_fma_f16 v65, v130, s17, -v125
	v_add_f16_e32 v65, v65, v131
	s_and_saveexec_b64 s[4:5], s[2:3]
	s_cbranch_execz .LBB0_15
; %bb.14:
	v_mul_f16_e32 v161, 0xb93d, v113
	s_movk_i32 s28, 0x3a0c
	v_fma_f16 v162, v96, s28, v161
	v_mul_f16_e32 v163, 0xb08e, v116
	v_add_f16_e32 v162, v63, v162
	v_fma_f16 v164, v98, s24, v163
	v_add_f16_e32 v162, v164, v162
	v_mul_f16_e32 v164, 0x3abb, v124
	v_fma_f16 v165, v112, s25, v164
	v_add_f16_e32 v162, v165, v162
	v_mul_f16_e32 v165, 0xbbad, v128
	;; [unrolled: 3-line block ×4, first 2 shown]
	v_fma_f16 v168, v92, s17, v167
	v_mul_f16_e32 v169, 0x3beb, v110
	v_add_f16_e32 v168, v29, v168
	v_fma_f16 v170, v93, s16, v169
	v_add_f16_e32 v168, v170, v168
	v_mul_f16_e32 v170, 0xb853, v123
	v_fma_f16 v171, v106, s14, v170
	v_add_f16_e32 v168, v171, v168
	v_mul_f16_e32 v171, 0xb482, v127
	v_fma_f16 v172, v117, s18, v171
	v_add_f16_e32 v168, v172, v168
	v_mul_f16_e32 v172, 0x3b47, v129
	v_mul_f16_e32 v132, 0x3abb, v113
	v_mul_f16_e32 v134, 0x36a6, v113
	;; [unrolled: 1-line block ×3, first 2 shown]
	v_fma_f16 v173, v121, s15, v172
	v_mul_f16_e32 v113, 0xbbad, v113
	v_mul_f16_e32 v138, 0x36a6, v116
	v_mul_f16_e32 v140, 0xb93d, v116
	v_mul_f16_e32 v142, 0xbbad, v116
	v_add_f16_e32 v168, v173, v168
	v_fma_f16 v173, v96, s27, v113
	v_mul_f16_e32 v116, 0x3abb, v116
	v_mul_f16_e32 v144, 0xb08e, v124
	v_mul_f16_e32 v146, 0xbbad, v124
	v_mul_f16_e32 v148, 0x36a6, v124
	v_add_f16_e32 v173, v63, v173
	;; [unrolled: 6-line block ×4, first 2 shown]
	v_fma_f16 v174, v120, s26, v128
	v_mul_f16_e32 v130, 0xb08e, v130
	v_add_f16_e32 v173, v174, v173
	v_fma_f16 v174, v126, s23, v130
	v_mul_f16_e32 v109, 0xb482, v109
	v_mul_f16_e32 v131, 0x3abb, v92
	;; [unrolled: 1-line block ×4, first 2 shown]
	v_add_f16_e32 v173, v174, v173
	v_fma_f16 v174, v92, s18, v109
	v_mul_f16_e32 v110, 0x3853, v110
	v_fma_f16 v109, v92, s18, -v109
	v_fma_f16 v92, v92, s17, -v167
	v_mul_f16_e32 v137, 0x36a6, v93
	v_mul_f16_e32 v139, 0xb93d, v93
	;; [unrolled: 1-line block ×3, first 2 shown]
	v_fma_f16 v175, v93, s14, v110
	v_fma_f16 v110, v93, s14, -v110
	v_add_f16_e32 v92, v29, v92
	v_fma_f16 v93, v93, s16, -v169
	v_add_f16_e32 v92, v93, v92
	;; [unrolled: 2-line block ×3, first 2 shown]
	v_fma_f16 v93, v117, s18, -v171
	v_sub_f16_e32 v90, v135, v90
	v_sub_f16_e32 v85, v133, v85
	;; [unrolled: 1-line block ×3, first 2 shown]
	v_add_f16_e32 v174, v29, v174
	v_add_f16_e32 v109, v29, v109
	;; [unrolled: 1-line block ×3, first 2 shown]
	v_fma_f16 v93, v121, s15, -v172
	v_add_f16_e32 v90, v29, v90
	v_add_f16_e32 v85, v29, v85
	;; [unrolled: 1-line block ×22, first 2 shown]
	v_mul_f16_e32 v143, 0xb08e, v106
	v_add_f16_e32 v93, v94, v93
	v_add_f16_e32 v94, v125, v160
	;; [unrolled: 1-line block ×5, first 2 shown]
	v_sub_f16_e32 v82, v137, v82
	v_add_f16_e32 v29, v29, v76
	v_add_f16_e32 v30, v30, v35
	v_mul_f16_e32 v145, 0xbbad, v106
	v_mul_f16_e32 v147, 0x36a6, v106
	;; [unrolled: 1-line block ×3, first 2 shown]
	v_fma_f16 v113, v96, s21, v113
	v_fma_f16 v96, v96, s22, v161
	v_add_f16_e32 v93, v94, v93
	v_sub_f16_e32 v94, v141, v99
	v_add_f16_e32 v87, v63, v87
	v_add_f16_e32 v88, v88, v140
	v_sub_f16_e32 v86, v139, v86
	v_add_f16_e32 v83, v84, v83
	v_add_f16_e32 v84, v91, v144
	;; [unrolled: 1-line block ×3, first 2 shown]
	v_sub_f16_e32 v82, v143, v89
	v_add_f16_e32 v29, v29, v77
	v_add_f16_e32 v30, v30, v36
	v_mul_f16_e32 v151, 0xb08e, v117
	v_mul_f16_e32 v153, 0x3abb, v117
	;; [unrolled: 1-line block ×4, first 2 shown]
	v_add_f16_e32 v113, v63, v113
	v_fma_f16 v116, v98, s25, v116
	v_add_f16_e32 v96, v63, v96
	v_fma_f16 v98, v98, s23, v163
	v_add_f16_e32 v90, v94, v90
	v_sub_f16_e32 v94, v147, v105
	v_add_f16_e32 v87, v88, v87
	v_add_f16_e32 v88, v101, v146
	v_add_f16_e32 v85, v86, v85
	v_sub_f16_e32 v86, v145, v97
	v_add_f16_e32 v83, v84, v83
	v_add_f16_e32 v84, v100, v150
	;; [unrolled: 4-line block ×3, first 2 shown]
	v_mul_f16_e32 v157, 0x3abb, v121
	v_mul_f16_e32 v159, 0xb93d, v121
	;; [unrolled: 1-line block ×3, first 2 shown]
	v_add_f16_e32 v113, v116, v113
	v_fma_f16 v116, v112, s22, v124
	v_add_f16_e32 v109, v110, v109
	v_fma_f16 v110, v106, s17, -v123
	v_add_f16_e32 v96, v98, v96
	v_fma_f16 v98, v112, s19, v164
	v_add_f16_e32 v90, v94, v90
	v_sub_f16_e32 v94, v153, v114
	v_add_f16_e32 v87, v88, v87
	v_add_f16_e32 v88, v107, v152
	v_add_f16_e32 v85, v86, v85
	v_sub_f16_e32 v86, v151, v104
	v_add_f16_e32 v83, v84, v83
	v_add_f16_e32 v84, v108, v156
	;; [unrolled: 4-line block ×3, first 2 shown]
	v_add_f16_e32 v174, v175, v174
	v_fma_f16 v175, v106, s17, v123
	v_mul_f16_e32 v129, 0xbbeb, v129
	v_add_f16_e32 v113, v116, v113
	v_fma_f16 v116, v120, s20, v128
	v_add_f16_e32 v109, v110, v109
	v_fma_f16 v110, v117, s15, -v127
	v_add_f16_e32 v96, v98, v96
	v_fma_f16 v98, v120, s21, v165
	v_add_f16_e32 v90, v94, v90
	v_sub_f16_e32 v94, v159, v122
	v_add_f16_e32 v87, v88, v87
	v_add_f16_e32 v88, v119, v158
	;; [unrolled: 1-line block ×3, first 2 shown]
	v_sub_f16_e32 v86, v157, v115
	v_add_f16_e32 v83, v84, v83
	v_add_f16_e32 v81, v82, v81
	;; [unrolled: 1-line block ×5, first 2 shown]
	v_fma_f16 v175, v117, s15, v127
	v_add_f16_e32 v113, v116, v113
	v_fma_f16 v116, v126, s24, v130
	v_add_f16_e32 v109, v110, v109
	v_fma_f16 v110, v121, s16, -v129
	v_add_f16_e32 v96, v98, v96
	v_fma_f16 v98, v126, s20, v166
	v_add_f16_e32 v90, v94, v90
	v_add_f16_e32 v87, v88, v87
	v_add_f16_e32 v85, v86, v85
	v_pack_b32_f16 v29, v29, v30
	v_pack_b32_f16 v30, v81, v83
	v_add_f16_e32 v174, v175, v174
	v_fma_f16 v175, v121, s16, v129
	v_add_f16_e32 v113, v116, v113
	v_add_f16_e32 v109, v110, v109
	;; [unrolled: 1-line block ×3, first 2 shown]
	ds_write2_b32 v39, v29, v30 offset1:90
	v_pack_b32_f16 v29, v85, v87
	v_pack_b32_f16 v30, v90, v93
	v_add_u32_e32 v31, 0x200, v39
	v_add_f16_e32 v174, v175, v174
	ds_write2_b32 v31, v29, v30 offset0:52 offset1:142
	v_pack_b32_f16 v29, v92, v96
	v_pack_b32_f16 v30, v109, v113
	v_add_u32_e32 v31, 0x400, v39
	ds_write2_b32 v31, v29, v30 offset0:104 offset1:194
	v_pack_b32_f16 v29, v174, v173
	v_pack_b32_f16 v30, v168, v162
	v_add_u32_e32 v31, 0x800, v39
	s_mov_b32 s14, 0x5040100
	ds_write2_b32 v31, v29, v30 offset0:28 offset1:118
	v_perm_b32 v29, v65, v64, s14
	v_perm_b32 v30, v67, v66, s14
	v_add_u32_e32 v31, 0xa00, v39
	ds_write2_b32 v31, v29, v30 offset0:80 offset1:170
	v_perm_b32 v29, v38, v37, s14
	ds_write_b32 v39, v29 offset:3600
.LBB0_15:
	s_or_b64 exec, exec, s[4:5]
	s_waitcnt lgkmcnt(0)
	s_barrier
	global_load_dword v33, v[16:17], off offset:3960
	s_add_u32 s4, s12, 0xf78
	s_addc_u32 s5, s13, 0
	global_load_dword v34, v39, s[4:5] offset:440
	global_load_dword v36, v39, s[4:5] offset:1980
	;; [unrolled: 1-line block ×7, first 2 shown]
	ds_read2_b32 v[31:32], v39 offset1:110
	v_add_u32_e32 v30, 0x600, v39
	v_add_u32_e32 v29, 0x200, v39
	;; [unrolled: 1-line block ×4, first 2 shown]
	s_waitcnt lgkmcnt(0)
	v_lshrrev_b32_e32 v68, 16, v31
	v_lshrrev_b32_e32 v69, 16, v32
	v_add_u32_e32 v75, 0x400, v39
	s_waitcnt vmcnt(7)
	v_mul_f16_sdwa v76, v68, v33 dst_sel:DWORD dst_unused:UNUSED_PAD src0_sel:DWORD src1_sel:WORD_1
	v_mul_f16_sdwa v77, v31, v33 dst_sel:DWORD dst_unused:UNUSED_PAD src0_sel:DWORD src1_sel:WORD_1
	v_fma_f16 v31, v31, v33, -v76
	v_fma_f16 v33, v68, v33, v77
	v_pack_b32_f16 v31, v31, v33
	s_waitcnt vmcnt(6)
	v_mul_f16_sdwa v33, v69, v34 dst_sel:DWORD dst_unused:UNUSED_PAD src0_sel:DWORD src1_sel:WORD_1
	v_mul_f16_sdwa v68, v32, v34 dst_sel:DWORD dst_unused:UNUSED_PAD src0_sel:DWORD src1_sel:WORD_1
	ds_write_b32 v39, v31
	v_fma_f16 v33, v32, v34, -v33
	ds_read2_b32 v[31:32], v30 offset0:111 offset1:221
	v_fma_f16 v34, v69, v34, v68
	v_pack_b32_f16 v76, v33, v34
	ds_read2_b32 v[33:34], v29 offset0:92 offset1:202
	ds_read2_b32 v[68:69], v35 offset0:75 offset1:185
	s_waitcnt lgkmcnt(2)
	v_lshrrev_b32_e32 v77, 16, v31
	s_waitcnt vmcnt(5)
	v_mul_f16_sdwa v78, v31, v36 dst_sel:DWORD dst_unused:UNUSED_PAD src0_sel:DWORD src1_sel:WORD_1
	v_lshrrev_b32_e32 v79, 16, v32
	s_waitcnt vmcnt(4)
	v_mul_f16_sdwa v80, v32, v63 dst_sel:DWORD dst_unused:UNUSED_PAD src0_sel:DWORD src1_sel:WORD_1
	s_waitcnt lgkmcnt(1)
	v_lshrrev_b32_e32 v81, 16, v33
	s_waitcnt vmcnt(3)
	v_mul_f16_sdwa v82, v33, v70 dst_sel:DWORD dst_unused:UNUSED_PAD src0_sel:DWORD src1_sel:WORD_1
	s_waitcnt lgkmcnt(0)
	v_lshrrev_b32_e32 v83, 16, v68
	s_waitcnt vmcnt(2)
	v_mul_f16_sdwa v84, v68, v71 dst_sel:DWORD dst_unused:UNUSED_PAD src0_sel:DWORD src1_sel:WORD_1
	v_lshrrev_b32_e32 v85, 16, v34
	s_waitcnt vmcnt(0)
	v_mul_f16_sdwa v86, v34, v73 dst_sel:DWORD dst_unused:UNUSED_PAD src0_sel:DWORD src1_sel:WORD_1
	v_lshrrev_b32_e32 v87, 16, v69
	v_mul_f16_sdwa v89, v77, v36 dst_sel:DWORD dst_unused:UNUSED_PAD src0_sel:DWORD src1_sel:WORD_1
	v_fma_f16 v77, v77, v36, v78
	v_mul_f16_sdwa v78, v79, v63 dst_sel:DWORD dst_unused:UNUSED_PAD src0_sel:DWORD src1_sel:WORD_1
	v_fma_f16 v79, v79, v63, v80
	v_mul_f16_sdwa v80, v81, v70 dst_sel:DWORD dst_unused:UNUSED_PAD src0_sel:DWORD src1_sel:WORD_1
	v_mul_f16_sdwa v88, v69, v72 dst_sel:DWORD dst_unused:UNUSED_PAD src0_sel:DWORD src1_sel:WORD_1
	v_fma_f16 v81, v81, v70, v82
	v_mul_f16_sdwa v82, v83, v71 dst_sel:DWORD dst_unused:UNUSED_PAD src0_sel:DWORD src1_sel:WORD_1
	v_fma_f16 v83, v83, v71, v84
	;; [unrolled: 2-line block ×3, first 2 shown]
	v_mul_f16_sdwa v86, v87, v72 dst_sel:DWORD dst_unused:UNUSED_PAD src0_sel:DWORD src1_sel:WORD_1
	v_fma_f16 v33, v33, v70, -v80
	v_fma_f16 v87, v87, v72, v88
	v_fma_f16 v31, v31, v36, -v89
	v_fma_f16 v32, v32, v63, -v78
	;; [unrolled: 1-line block ×5, first 2 shown]
	v_pack_b32_f16 v33, v33, v81
	v_pack_b32_f16 v31, v31, v77
	v_pack_b32_f16 v32, v32, v79
	v_pack_b32_f16 v36, v36, v83
	v_pack_b32_f16 v34, v34, v85
	v_pack_b32_f16 v63, v63, v87
	ds_write2_b32 v39, v76, v33 offset0:110 offset1:220
	ds_write2_b32 v74, v32, v36 offset0:93 offset1:203
	;; [unrolled: 1-line block ×3, first 2 shown]
	ds_write_b32 v39, v63 offset:3300
	s_and_saveexec_b64 s[12:13], s[0:1]
	s_cbranch_execz .LBB0_17
; %bb.16:
	v_mov_b32_e32 v32, s5
	v_add_co_u32_e64 v31, s[4:5], s4, v39
	v_addc_co_u32_e64 v32, s[4:5], 0, v32, s[4:5]
	global_load_dword v33, v[31:32], off offset:1760
	global_load_dword v34, v[31:32], off offset:3740
	ds_read_b32 v31, v39 offset:1760
	ds_read_b32 v32, v39 offset:3740
	s_waitcnt lgkmcnt(1)
	v_lshrrev_b32_e32 v36, 16, v31
	s_waitcnt lgkmcnt(0)
	v_lshrrev_b32_e32 v63, 16, v32
	s_waitcnt vmcnt(1)
	v_mul_f16_sdwa v68, v36, v33 dst_sel:DWORD dst_unused:UNUSED_PAD src0_sel:DWORD src1_sel:WORD_1
	v_mul_f16_sdwa v69, v31, v33 dst_sel:DWORD dst_unused:UNUSED_PAD src0_sel:DWORD src1_sel:WORD_1
	s_waitcnt vmcnt(0)
	v_mul_f16_sdwa v70, v63, v34 dst_sel:DWORD dst_unused:UNUSED_PAD src0_sel:DWORD src1_sel:WORD_1
	v_mul_f16_sdwa v71, v32, v34 dst_sel:DWORD dst_unused:UNUSED_PAD src0_sel:DWORD src1_sel:WORD_1
	v_fma_f16 v31, v31, v33, -v68
	v_fma_f16 v33, v36, v33, v69
	v_fma_f16 v32, v32, v34, -v70
	v_fma_f16 v34, v63, v34, v71
	v_pack_b32_f16 v31, v31, v33
	v_pack_b32_f16 v32, v32, v34
	ds_write_b32 v39, v31 offset:1760
	ds_write_b32 v39, v32 offset:3740
.LBB0_17:
	s_or_b64 exec, exec, s[12:13]
	s_waitcnt lgkmcnt(0)
	s_barrier
	ds_read2_b32 v[31:32], v39 offset1:110
	ds_read2_b32 v[33:34], v30 offset0:111 offset1:221
	ds_read2_b32 v[29:30], v29 offset0:92 offset1:202
	;; [unrolled: 1-line block ×3, first 2 shown]
	v_add_u32_e32 v53, 0xa50, v53
	s_and_saveexec_b64 s[4:5], s[0:1]
	s_cbranch_execz .LBB0_19
; %bb.18:
	ds_read_b32 v64, v39 offset:1760
	ds_read_b32 v66, v39 offset:3740
	s_waitcnt lgkmcnt(1)
	v_lshrrev_b32_e32 v65, 16, v64
	s_waitcnt lgkmcnt(0)
	v_lshrrev_b32_e32 v67, 16, v66
.LBB0_19:
	s_or_b64 exec, exec, s[4:5]
	s_waitcnt lgkmcnt(2)
	v_pk_add_f16 v68, v31, v33 neg_lo:[0,1] neg_hi:[0,1]
	v_pk_add_f16 v69, v32, v34 neg_lo:[0,1] neg_hi:[0,1]
	v_sub_f16_e32 v34, v65, v67
	v_pk_fma_f16 v67, v31, 2.0, v68 op_sel_hi:[1,0,1] neg_lo:[0,0,1] neg_hi:[0,0,1]
	s_waitcnt lgkmcnt(0)
	v_pk_add_f16 v70, v29, v35 neg_lo:[0,1] neg_hi:[0,1]
	v_pk_add_f16 v36, v30, v36 neg_lo:[0,1] neg_hi:[0,1]
	s_barrier
	ds_write_b64 v50, v[67:68]
	v_pk_fma_f16 v68, v32, 2.0, v69 op_sel_hi:[1,0,1] neg_lo:[0,0,1] neg_hi:[0,0,1]
	v_sub_f16_e32 v33, v64, v66
	ds_write_b64 v51, v[68:69]
	v_pk_fma_f16 v69, v29, 2.0, v70 op_sel_hi:[1,0,1] neg_lo:[0,0,1] neg_hi:[0,0,1]
	v_pk_fma_f16 v35, v30, 2.0, v36 op_sel_hi:[1,0,1] neg_lo:[0,0,1] neg_hi:[0,0,1]
	ds_write_b64 v52, v[69:70]
	ds_write_b64 v53, v[35:36]
	s_and_saveexec_b64 s[4:5], s[0:1]
	s_cbranch_execz .LBB0_21
; %bb.20:
	v_fma_f16 v29, v64, 2.0, -v33
	v_fma_f16 v30, v65, 2.0, -v34
	s_mov_b32 s12, 0x5040100
	v_pack_b32_f16 v29, v29, v30
	v_perm_b32 v30, v34, v33, s12
	ds_write_b64 v49, v[29:30]
.LBB0_21:
	s_or_b64 exec, exec, s[4:5]
	v_add_u32_e32 v51, 0x200, v39
	s_waitcnt lgkmcnt(0)
	s_barrier
	ds_read2_b32 v[31:32], v51 offset0:92 offset1:202
	v_add_u32_e32 v52, 0xa00, v39
	ds_read2_b32 v[35:36], v52 offset0:20 offset1:130
	v_add_u32_e32 v63, 0x600, v39
	ds_read2_b32 v[49:50], v63 offset0:56 offset1:166
	s_waitcnt lgkmcnt(2)
	v_lshrrev_b32_e32 v64, 16, v32
	v_mul_f16_sdwa v73, v19, v64 dst_sel:DWORD dst_unused:UNUSED_PAD src0_sel:WORD_1 src1_sel:DWORD
	s_waitcnt lgkmcnt(1)
	v_lshrrev_b32_e32 v65, 16, v35
	v_fma_f16 v73, v19, v32, v73
	v_mul_f16_sdwa v32, v19, v32 dst_sel:DWORD dst_unused:UNUSED_PAD src0_sel:WORD_1 src1_sel:DWORD
	v_fma_f16 v32, v19, v64, -v32
	v_mul_f16_sdwa v64, v20, v65 dst_sel:DWORD dst_unused:UNUSED_PAD src0_sel:WORD_1 src1_sel:DWORD
	s_waitcnt lgkmcnt(0)
	v_lshrrev_b32_e32 v68, 16, v49
	v_fma_f16 v64, v20, v35, v64
	v_mul_f16_sdwa v35, v20, v35 dst_sel:DWORD dst_unused:UNUSED_PAD src0_sel:WORD_1 src1_sel:DWORD
	ds_read_b32 v67, v39 offset:3520
	v_fma_f16 v35, v20, v65, -v35
	v_mul_f16_sdwa v65, v19, v68 dst_sel:DWORD dst_unused:UNUSED_PAD src0_sel:WORD_1 src1_sel:DWORD
	v_lshrrev_b32_e32 v69, 16, v36
	v_fma_f16 v65, v19, v49, v65
	v_mul_f16_sdwa v49, v19, v49 dst_sel:DWORD dst_unused:UNUSED_PAD src0_sel:WORD_1 src1_sel:DWORD
	v_fma_f16 v49, v19, v68, -v49
	v_mul_f16_sdwa v68, v20, v69 dst_sel:DWORD dst_unused:UNUSED_PAD src0_sel:WORD_1 src1_sel:DWORD
	ds_read2_b32 v[29:30], v39 offset1:110
	v_lshrrev_b32_e32 v71, 16, v50
	v_fma_f16 v68, v20, v36, v68
	v_mul_f16_sdwa v36, v20, v36 dst_sel:DWORD dst_unused:UNUSED_PAD src0_sel:WORD_1 src1_sel:DWORD
	v_fma_f16 v36, v20, v69, -v36
	v_mul_f16_sdwa v69, v19, v71 dst_sel:DWORD dst_unused:UNUSED_PAD src0_sel:WORD_1 src1_sel:DWORD
	s_waitcnt lgkmcnt(1)
	v_lshrrev_b32_e32 v72, 16, v67
	v_fma_f16 v69, v19, v50, v69
	v_mul_f16_sdwa v50, v19, v50 dst_sel:DWORD dst_unused:UNUSED_PAD src0_sel:WORD_1 src1_sel:DWORD
	v_fma_f16 v19, v19, v71, -v50
	v_mul_f16_sdwa v50, v20, v72 dst_sel:DWORD dst_unused:UNUSED_PAD src0_sel:WORD_1 src1_sel:DWORD
	v_fma_f16 v50, v20, v67, v50
	v_mul_f16_sdwa v67, v20, v67 dst_sel:DWORD dst_unused:UNUSED_PAD src0_sel:WORD_1 src1_sel:DWORD
	v_add_f16_e32 v71, v73, v64
	s_waitcnt lgkmcnt(0)
	v_lshrrev_b32_e32 v53, 16, v29
	v_fma_f16 v20, v20, v72, -v67
	v_add_f16_e32 v67, v29, v73
	v_fma_f16 v29, v71, -0.5, v29
	v_sub_f16_e32 v71, v32, v35
	s_mov_b32 s4, 0xbaee
	s_movk_i32 s5, 0x3aee
	v_fma_f16 v72, v71, s4, v29
	v_fma_f16 v29, v71, s5, v29
	v_add_f16_e32 v71, v53, v32
	v_add_f16_e32 v32, v32, v35
	;; [unrolled: 1-line block ×4, first 2 shown]
	v_fma_f16 v32, v32, -0.5, v53
	v_sub_f16_e32 v35, v73, v64
	v_add_f16_e32 v64, v65, v68
	v_lshrrev_b32_e32 v66, 16, v30
	v_fma_f16 v53, v35, s5, v32
	v_fma_f16 v32, v35, s4, v32
	v_add_f16_e32 v35, v30, v65
	v_fma_f16 v30, v64, -0.5, v30
	v_sub_f16_e32 v64, v49, v36
	v_fma_f16 v73, v64, s4, v30
	v_fma_f16 v30, v64, s5, v30
	v_add_f16_e32 v64, v66, v49
	v_add_f16_e32 v64, v64, v36
	;; [unrolled: 1-line block ×3, first 2 shown]
	v_fma_f16 v36, v36, -0.5, v66
	v_sub_f16_e32 v49, v65, v68
	v_add_f16_e32 v66, v69, v50
	v_lshrrev_b32_e32 v70, 16, v31
	v_fma_f16 v65, v49, s5, v36
	v_fma_f16 v36, v49, s4, v36
	v_add_f16_e32 v49, v31, v69
	v_fma_f16 v31, v66, -0.5, v31
	v_sub_f16_e32 v66, v19, v20
	v_add_f16_e32 v35, v35, v68
	v_fma_f16 v68, v66, s4, v31
	v_fma_f16 v31, v66, s5, v31
	v_add_f16_e32 v66, v70, v19
	v_add_f16_e32 v19, v19, v20
	;; [unrolled: 1-line block ×3, first 2 shown]
	v_fma_f16 v19, v19, -0.5, v70
	v_sub_f16_e32 v20, v69, v50
	v_add_f16_e32 v49, v49, v50
	v_fma_f16 v50, v20, s5, v19
	v_fma_f16 v19, v20, s4, v19
	v_pack_b32_f16 v20, v67, v71
	v_pack_b32_f16 v53, v72, v53
	s_barrier
	ds_write2_b32 v54, v20, v53 offset1:2
	v_pack_b32_f16 v20, v29, v32
	ds_write_b32 v54, v20 offset:16
	v_pack_b32_f16 v20, v35, v64
	v_pack_b32_f16 v29, v73, v65
	ds_write2_b32 v55, v20, v29 offset1:2
	v_pack_b32_f16 v20, v30, v36
	ds_write_b32 v55, v20 offset:16
	v_pack_b32_f16 v20, v49, v66
	v_pack_b32_f16 v29, v68, v50
	v_pack_b32_f16 v19, v31, v19
	ds_write2_b32 v56, v20, v29 offset1:2
	ds_write_b32 v56, v19 offset:16
	s_waitcnt lgkmcnt(0)
	s_barrier
	ds_read2_b32 v[19:20], v39 offset1:110
	ds_read2_b32 v[30:31], v51 offset0:92 offset1:202
	ds_read2_b32 v[35:36], v52 offset0:20 offset1:130
	;; [unrolled: 1-line block ×3, first 2 shown]
	ds_read_b32 v53, v39 offset:3520
	s_waitcnt lgkmcnt(4)
	v_lshrrev_b32_e32 v29, 16, v19
	s_waitcnt lgkmcnt(3)
	v_lshrrev_b32_e32 v32, 16, v31
	v_mul_f16_sdwa v66, v25, v32 dst_sel:DWORD dst_unused:UNUSED_PAD src0_sel:WORD_1 src1_sel:DWORD
	s_waitcnt lgkmcnt(2)
	v_lshrrev_b32_e32 v51, 16, v35
	v_fma_f16 v66, v25, v31, v66
	v_mul_f16_sdwa v31, v25, v31 dst_sel:DWORD dst_unused:UNUSED_PAD src0_sel:WORD_1 src1_sel:DWORD
	s_waitcnt lgkmcnt(1)
	v_lshrrev_b32_e32 v54, 16, v49
	v_fma_f16 v25, v25, v32, -v31
	v_mul_f16_sdwa v31, v26, v51 dst_sel:DWORD dst_unused:UNUSED_PAD src0_sel:WORD_1 src1_sel:DWORD
	v_mul_f16_sdwa v32, v26, v35 dst_sel:DWORD dst_unused:UNUSED_PAD src0_sel:WORD_1 src1_sel:DWORD
	v_lshrrev_b32_e32 v55, 16, v36
	v_fma_f16 v31, v26, v35, v31
	v_fma_f16 v26, v26, v51, -v32
	v_mul_f16_sdwa v32, v23, v54 dst_sel:DWORD dst_unused:UNUSED_PAD src0_sel:WORD_1 src1_sel:DWORD
	v_mul_f16_sdwa v35, v23, v49 dst_sel:DWORD dst_unused:UNUSED_PAD src0_sel:WORD_1 src1_sel:DWORD
	v_fma_f16 v32, v23, v49, v32
	v_fma_f16 v23, v23, v54, -v35
	v_mul_f16_sdwa v35, v24, v55 dst_sel:DWORD dst_unused:UNUSED_PAD src0_sel:WORD_1 src1_sel:DWORD
	v_lshrrev_b32_e32 v64, 16, v50
	v_fma_f16 v35, v24, v36, v35
	v_mul_f16_sdwa v36, v24, v36 dst_sel:DWORD dst_unused:UNUSED_PAD src0_sel:WORD_1 src1_sel:DWORD
	s_waitcnt lgkmcnt(0)
	v_lshrrev_b32_e32 v65, 16, v53
	v_fma_f16 v24, v24, v55, -v36
	v_mul_f16_sdwa v36, v21, v64 dst_sel:DWORD dst_unused:UNUSED_PAD src0_sel:WORD_1 src1_sel:DWORD
	v_mul_f16_sdwa v49, v21, v50 dst_sel:DWORD dst_unused:UNUSED_PAD src0_sel:WORD_1 src1_sel:DWORD
	v_fma_f16 v36, v21, v50, v36
	v_fma_f16 v21, v21, v64, -v49
	v_mul_f16_sdwa v49, v22, v65 dst_sel:DWORD dst_unused:UNUSED_PAD src0_sel:WORD_1 src1_sel:DWORD
	v_mul_f16_sdwa v50, v22, v53 dst_sel:DWORD dst_unused:UNUSED_PAD src0_sel:WORD_1 src1_sel:DWORD
	v_add_f16_e32 v51, v66, v31
	v_fma_f16 v49, v22, v53, v49
	v_fma_f16 v22, v22, v65, -v50
	v_add_f16_e32 v50, v19, v66
	v_fma_f16 v19, v51, -0.5, v19
	v_sub_f16_e32 v51, v25, v26
	v_fma_f16 v53, v51, s4, v19
	v_fma_f16 v51, v51, s5, v19
	v_add_f16_e32 v19, v29, v25
	v_add_f16_e32 v54, v19, v26
	;; [unrolled: 1-line block ×3, first 2 shown]
	v_fma_f16 v19, v19, -0.5, v29
	v_sub_f16_e32 v25, v66, v31
	v_fma_f16 v26, v25, s5, v19
	v_fma_f16 v25, v25, s4, v19
	v_add_f16_e32 v19, v20, v32
	v_add_f16_e32 v55, v19, v35
	;; [unrolled: 1-line block ×3, first 2 shown]
	v_lshrrev_b32_e32 v52, 16, v20
	v_fma_f16 v19, v19, -0.5, v20
	v_sub_f16_e32 v20, v23, v24
	v_fma_f16 v64, v20, s4, v19
	v_fma_f16 v19, v20, s5, v19
	v_add_f16_e32 v20, v52, v23
	v_add_f16_e32 v65, v20, v24
	;; [unrolled: 1-line block ×3, first 2 shown]
	v_fma_f16 v20, v20, -0.5, v52
	v_sub_f16_e32 v23, v32, v35
	v_fma_f16 v35, v23, s5, v20
	v_fma_f16 v29, v23, s4, v20
	v_add_f16_e32 v23, v36, v49
	v_lshrrev_b32_e32 v56, 16, v30
	v_add_f16_e32 v20, v30, v36
	v_fma_f16 v24, v23, -0.5, v30
	v_sub_f16_e32 v30, v21, v22
	v_fma_f16 v23, v30, s4, v24
	v_fma_f16 v24, v30, s5, v24
	v_add_f16_e32 v30, v56, v21
	v_add_f16_e32 v21, v21, v22
	v_add_f16_e32 v50, v50, v31
	v_add_f16_e32 v31, v30, v22
	v_fma_f16 v21, v21, -0.5, v56
	v_sub_f16_e32 v22, v36, v49
	v_fma_f16 v32, v22, s5, v21
	v_fma_f16 v30, v22, s4, v21
	v_pack_b32_f16 v21, v50, v54
	v_pack_b32_f16 v22, v53, v26
	s_barrier
	ds_write2_b32 v59, v21, v22 offset1:6
	v_pack_b32_f16 v21, v51, v25
	ds_write_b32 v59, v21 offset:48
	v_pack_b32_f16 v21, v55, v65
	v_pack_b32_f16 v22, v64, v35
	v_add_f16_e32 v20, v20, v49
	ds_write2_b32 v60, v21, v22 offset1:6
	v_pack_b32_f16 v21, v19, v29
	ds_write_b32 v60, v21 offset:48
	v_pack_b32_f16 v21, v20, v31
	v_pack_b32_f16 v22, v23, v32
	ds_write2_b32 v61, v21, v22 offset1:6
	v_pack_b32_f16 v21, v24, v30
	ds_write_b32 v61, v21 offset:48
	s_waitcnt lgkmcnt(0)
	s_barrier
	ds_read2_b32 v[21:22], v39 offset1:198
	ds_read2_b32 v[25:26], v63 offset0:12 offset1:210
	ds_read_b32 v35, v39 offset:3168
	s_and_saveexec_b64 s[4:5], vcc
	s_cbranch_execz .LBB0_23
; %bb.22:
	v_add_u32_e32 v19, 0x100, v39
	v_add_u32_e32 v23, 0x780, v39
	ds_read2_b32 v[19:20], v19 offset0:46 offset1:244
	ds_read2_b32 v[23:24], v23 offset0:26 offset1:224
	ds_read_b32 v33, v39 offset:3608
	s_waitcnt lgkmcnt(1)
	v_lshrrev_b32_e32 v32, 16, v23
	v_lshrrev_b32_e32 v29, 16, v19
	;; [unrolled: 1-line block ×4, first 2 shown]
	s_waitcnt lgkmcnt(0)
	v_lshrrev_b32_e32 v34, 16, v33
.LBB0_23:
	s_or_b64 exec, exec, s[4:5]
	s_waitcnt lgkmcnt(2)
	v_lshrrev_b32_e32 v49, 16, v22
	v_mul_f16_sdwa v53, v0, v49 dst_sel:DWORD dst_unused:UNUSED_PAD src0_sel:WORD_1 src1_sel:DWORD
	s_waitcnt lgkmcnt(1)
	v_lshrrev_b32_e32 v50, 16, v25
	v_fma_f16 v53, v0, v22, v53
	v_mul_f16_sdwa v22, v0, v22 dst_sel:DWORD dst_unused:UNUSED_PAD src0_sel:WORD_1 src1_sel:DWORD
	v_fma_f16 v49, v0, v49, -v22
	v_mul_f16_sdwa v0, v1, v50 dst_sel:DWORD dst_unused:UNUSED_PAD src0_sel:WORD_1 src1_sel:DWORD
	v_lshrrev_b32_e32 v51, 16, v26
	v_fma_f16 v22, v1, v25, v0
	v_mul_f16_sdwa v0, v1, v25 dst_sel:DWORD dst_unused:UNUSED_PAD src0_sel:WORD_1 src1_sel:DWORD
	v_fma_f16 v50, v1, v50, -v0
	v_mul_f16_sdwa v0, v2, v51 dst_sel:DWORD dst_unused:UNUSED_PAD src0_sel:WORD_1 src1_sel:DWORD
	s_waitcnt lgkmcnt(0)
	v_lshrrev_b32_e32 v52, 16, v35
	v_fma_f16 v25, v2, v26, v0
	v_mul_f16_sdwa v0, v2, v26 dst_sel:DWORD dst_unused:UNUSED_PAD src0_sel:WORD_1 src1_sel:DWORD
	v_fma_f16 v26, v2, v51, -v0
	v_mul_f16_sdwa v0, v3, v52 dst_sel:DWORD dst_unused:UNUSED_PAD src0_sel:WORD_1 src1_sel:DWORD
	v_fma_f16 v51, v3, v35, v0
	v_mul_f16_sdwa v0, v3, v35 dst_sel:DWORD dst_unused:UNUSED_PAD src0_sel:WORD_1 src1_sel:DWORD
	v_fma_f16 v3, v3, v52, -v0
	v_mul_f16_sdwa v0, v4, v31 dst_sel:DWORD dst_unused:UNUSED_PAD src0_sel:WORD_1 src1_sel:DWORD
	;; [unrolled: 4-line block ×5, first 2 shown]
	v_add_f16_e32 v1, v22, v25
	v_fma_f16 v30, v7, v33, v0
	v_mul_f16_sdwa v0, v7, v33 dst_sel:DWORD dst_unused:UNUSED_PAD src0_sel:WORD_1 src1_sel:DWORD
	v_fma_f16 v2, v1, -0.5, v21
	v_sub_f16_e32 v5, v49, v3
	s_mov_b32 s4, 0xbb9c
	s_movk_i32 s13, 0x3b9c
	v_fma_f16 v33, v7, v34, -v0
	v_fma_f16 v1, v5, s4, v2
	v_sub_f16_e32 v6, v50, v26
	s_mov_b32 s5, 0xb8b4
	v_sub_f16_e32 v4, v53, v22
	v_sub_f16_e32 v7, v51, v25
	v_fma_f16 v2, v5, s13, v2
	s_movk_i32 s14, 0x38b4
	v_fma_f16 v1, v6, s5, v1
	v_add_f16_e32 v4, v4, v7
	s_movk_i32 s12, 0x34f2
	v_fma_f16 v2, v6, s14, v2
	v_fma_f16 v1, v4, s12, v1
	;; [unrolled: 1-line block ×3, first 2 shown]
	v_add_f16_e32 v4, v53, v51
	v_fma_f16 v7, v4, -0.5, v21
	v_lshrrev_b32_e32 v36, 16, v21
	v_fma_f16 v4, v6, s13, v7
	v_fma_f16 v6, v6, s4, v7
	;; [unrolled: 1-line block ×4, first 2 shown]
	v_add_f16_e32 v6, v36, v49
	v_add_f16_e32 v6, v6, v50
	;; [unrolled: 1-line block ×3, first 2 shown]
	v_sub_f16_e32 v20, v22, v53
	v_sub_f16_e32 v21, v25, v51
	v_add_f16_e32 v6, v6, v26
	v_add_f16_e32 v20, v20, v21
	;; [unrolled: 1-line block ×4, first 2 shown]
	v_fma_f16 v6, v6, -0.5, v36
	v_sub_f16_e32 v7, v53, v51
	v_add_f16_e32 v0, v0, v22
	v_fma_f16 v4, v20, s12, v4
	v_fma_f16 v5, v20, s12, v5
	v_fma_f16 v20, v7, s13, v6
	v_sub_f16_e32 v23, v22, v25
	v_sub_f16_e32 v22, v49, v50
	;; [unrolled: 1-line block ×3, first 2 shown]
	v_fma_f16 v6, v7, s4, v6
	v_fma_f16 v20, v23, s14, v20
	v_add_f16_e32 v22, v22, v24
	v_fma_f16 v6, v23, s5, v6
	v_add_f16_e32 v0, v0, v25
	v_fma_f16 v25, v22, s12, v20
	v_fma_f16 v22, v22, s12, v6
	v_add_f16_e32 v6, v49, v3
	v_fma_f16 v6, v6, -0.5, v36
	v_fma_f16 v20, v23, s4, v6
	v_sub_f16_e32 v24, v50, v49
	v_sub_f16_e32 v3, v26, v3
	v_fma_f16 v6, v23, s13, v6
	v_add_f16_e32 v3, v24, v3
	v_fma_f16 v6, v7, s5, v6
	v_fma_f16 v23, v3, s12, v6
	v_add_f16_e32 v6, v32, v52
	v_fma_f16 v20, v7, s14, v20
	v_fma_f16 v7, v6, -0.5, v19
	v_sub_f16_e32 v26, v31, v33
	v_fma_f16 v24, v3, s12, v20
	v_fma_f16 v6, v26, s4, v7
	v_sub_f16_e32 v34, v54, v55
	v_sub_f16_e32 v20, v35, v52
	;; [unrolled: 1-line block ×3, first 2 shown]
	v_fma_f16 v7, v26, s13, v7
	v_fma_f16 v6, v34, s5, v6
	v_add_f16_e32 v20, v36, v20
	v_fma_f16 v7, v34, s14, v7
	v_fma_f16 v6, v20, s12, v6
	;; [unrolled: 1-line block ×3, first 2 shown]
	v_add_f16_e32 v7, v30, v35
	v_add_f16_e32 v3, v19, v35
	v_fma_f16 v19, v7, -0.5, v19
	v_add_f16_e32 v3, v52, v3
	v_fma_f16 v7, v34, s13, v19
	v_sub_f16_e32 v36, v52, v35
	v_sub_f16_e32 v49, v32, v30
	v_fma_f16 v19, v34, s4, v19
	v_add_f16_e32 v34, v55, v54
	v_add_f16_e32 v3, v32, v3
	v_fma_f16 v7, v26, s5, v7
	v_add_f16_e32 v36, v49, v36
	v_fma_f16 v19, v26, s14, v19
	v_fma_f16 v34, v34, -0.5, v29
	v_sub_f16_e32 v35, v35, v30
	v_add_f16_e32 v3, v30, v3
	v_fma_f16 v7, v36, s12, v7
	v_fma_f16 v19, v36, s12, v19
	v_add_f16_e32 v26, v31, v29
	v_fma_f16 v30, v35, s13, v34
	v_sub_f16_e32 v36, v52, v32
	v_sub_f16_e32 v32, v31, v54
	;; [unrolled: 1-line block ×3, first 2 shown]
	v_fma_f16 v34, v35, s4, v34
	v_add_f16_e32 v26, v54, v26
	v_fma_f16 v30, v36, s14, v30
	v_add_f16_e32 v32, v49, v32
	;; [unrolled: 2-line block ×3, first 2 shown]
	v_fma_f16 v30, v32, s12, v30
	v_fma_f16 v32, v32, s12, v34
	v_add_f16_e32 v34, v33, v31
	v_add_f16_e32 v26, v33, v26
	v_fma_f16 v34, v34, -0.5, v29
	v_sub_f16_e32 v31, v54, v31
	v_sub_f16_e32 v33, v55, v33
	v_fma_f16 v29, v36, s4, v34
	v_add_f16_e32 v31, v33, v31
	v_fma_f16 v33, v36, s13, v34
	v_add_f16_e32 v0, v0, v51
	v_fma_f16 v29, v35, s14, v29
	v_fma_f16 v33, v35, s5, v33
	;; [unrolled: 1-line block ×4, first 2 shown]
	v_pack_b32_f16 v33, v0, v21
	v_pack_b32_f16 v34, v1, v25
	s_barrier
	ds_write2_b32 v62, v33, v34 offset1:18
	v_pack_b32_f16 v33, v4, v24
	v_pack_b32_f16 v34, v5, v23
	ds_write2_b32 v62, v33, v34 offset0:36 offset1:54
	v_pack_b32_f16 v33, v2, v22
	ds_write_b32 v62, v33 offset:288
	s_and_saveexec_b64 s[4:5], vcc
	s_cbranch_execz .LBB0_25
; %bb.24:
	v_mul_u32_u24_e32 v33, 0x5a, v57
	s_mov_b32 s12, 0x5040100
	v_add_lshl_u32 v33, v33, v58, 2
	v_perm_b32 v34, v26, v3, s12
	v_perm_b32 v35, v30, v6, s12
	ds_write2_b32 v33, v34, v35 offset1:18
	v_perm_b32 v34, v29, v7, s12
	v_perm_b32 v35, v31, v19, s12
	ds_write2_b32 v33, v34, v35 offset0:36 offset1:54
	v_perm_b32 v34, v32, v20, s12
	ds_write_b32 v33, v34 offset:288
.LBB0_25:
	s_or_b64 exec, exec, s[4:5]
	s_waitcnt lgkmcnt(0)
	s_barrier
	s_and_saveexec_b64 s[4:5], s[2:3]
	s_cbranch_execz .LBB0_27
; %bb.26:
	v_add_u32_e32 v2, 0x200, v39
	ds_read2_b32 v[4:5], v2 offset0:52 offset1:142
	v_add_u32_e32 v2, 0x400, v39
	v_add_u32_e32 v6, 0x800, v39
	;; [unrolled: 1-line block ×3, first 2 shown]
	ds_read2_b32 v[0:1], v39 offset1:90
	ds_read2_b32 v[2:3], v2 offset0:104 offset1:194
	ds_read2_b32 v[6:7], v6 offset0:28 offset1:118
	;; [unrolled: 1-line block ×3, first 2 shown]
	ds_read_b32 v37, v39 offset:3600
	s_waitcnt lgkmcnt(4)
	v_lshrrev_b32_e32 v21, 16, v0
	v_lshrrev_b32_e32 v25, 16, v1
	;; [unrolled: 1-line block ×4, first 2 shown]
	s_waitcnt lgkmcnt(3)
	v_lshrrev_b32_e32 v22, 16, v2
	v_lshrrev_b32_e32 v26, 16, v3
	s_waitcnt lgkmcnt(2)
	v_lshrrev_b32_e32 v30, 16, v6
	v_lshrrev_b32_e32 v29, 16, v7
	;; [unrolled: 3-line block ×3, first 2 shown]
	s_waitcnt lgkmcnt(0)
	v_lshrrev_b32_e32 v38, 16, v37
.LBB0_27:
	s_or_b64 exec, exec, s[4:5]
	s_and_saveexec_b64 s[4:5], s[2:3]
	s_cbranch_execz .LBB0_29
; %bb.28:
	v_mul_f16_sdwa v34, v28, v38 dst_sel:DWORD dst_unused:UNUSED_PAD src0_sel:WORD_1 src1_sel:DWORD
	v_mul_f16_sdwa v33, v8, v25 dst_sel:DWORD dst_unused:UNUSED_PAD src0_sel:WORD_1 src1_sel:DWORD
	v_fma_f16 v34, v28, v37, v34
	v_mul_f16_sdwa v37, v28, v37 dst_sel:DWORD dst_unused:UNUSED_PAD src0_sel:WORD_1 src1_sel:DWORD
	v_fma_f16 v33, v8, v1, v33
	v_fma_f16 v28, v28, v38, -v37
	v_mul_f16_sdwa v1, v8, v1 dst_sel:DWORD dst_unused:UNUSED_PAD src0_sel:WORD_1 src1_sel:DWORD
	v_mul_f16_sdwa v37, v9, v24 dst_sel:DWORD dst_unused:UNUSED_PAD src0_sel:WORD_1 src1_sel:DWORD
	;; [unrolled: 1-line block ×3, first 2 shown]
	v_sub_f16_e32 v35, v33, v34
	v_fma_f16 v1, v8, v25, -v1
	v_fma_f16 v37, v9, v4, v37
	v_fma_f16 v38, v27, v20, v38
	v_mul_f16_sdwa v20, v27, v20 dst_sel:DWORD dst_unused:UNUSED_PAD src0_sel:WORD_1 src1_sel:DWORD
	v_mul_f16_sdwa v4, v9, v4 dst_sel:DWORD dst_unused:UNUSED_PAD src0_sel:WORD_1 src1_sel:DWORD
	v_mul_f16_e32 v36, 0xbb47, v35
	v_add_f16_e32 v8, v28, v1
	s_movk_i32 s2, 0x36a6
	v_sub_f16_e32 v49, v37, v38
	v_fma_f16 v20, v27, v32, -v20
	v_fma_f16 v4, v9, v24, -v4
	v_fma_f16 v25, v8, s2, v36
	v_mul_f16_e32 v50, 0xba0c, v49
	v_add_f16_e32 v9, v20, v4
	s_mov_b32 s12, 0xb93d
	v_add_f16_e32 v25, v21, v25
	v_fma_f16 v24, v9, s12, v50
	v_add_f16_e32 v24, v24, v25
	v_mul_f16_sdwa v25, v10, v23 dst_sel:DWORD dst_unused:UNUSED_PAD src0_sel:WORD_1 src1_sel:DWORD
	v_mul_f16_sdwa v27, v15, v31 dst_sel:DWORD dst_unused:UNUSED_PAD src0_sel:WORD_1 src1_sel:DWORD
	v_fma_f16 v25, v10, v5, v25
	v_fma_f16 v27, v15, v19, v27
	v_mul_f16_sdwa v19, v15, v19 dst_sel:DWORD dst_unused:UNUSED_PAD src0_sel:WORD_1 src1_sel:DWORD
	v_mul_f16_sdwa v5, v10, v5 dst_sel:DWORD dst_unused:UNUSED_PAD src0_sel:WORD_1 src1_sel:DWORD
	v_sub_f16_e32 v32, v25, v27
	v_fma_f16 v15, v15, v31, -v19
	v_fma_f16 v5, v10, v23, -v5
	v_mul_f16_e32 v51, 0x3482, v32
	v_add_f16_e32 v10, v15, v5
	s_mov_b32 s14, 0xbbad
	v_fma_f16 v19, v10, s14, v51
	v_add_f16_e32 v19, v19, v24
	v_mul_f16_sdwa v23, v11, v22 dst_sel:DWORD dst_unused:UNUSED_PAD src0_sel:WORD_1 src1_sel:DWORD
	v_mul_f16_sdwa v24, v14, v29 dst_sel:DWORD dst_unused:UNUSED_PAD src0_sel:WORD_1 src1_sel:DWORD
	v_fma_f16 v23, v11, v2, v23
	v_fma_f16 v24, v14, v7, v24
	v_mul_f16_sdwa v7, v14, v7 dst_sel:DWORD dst_unused:UNUSED_PAD src0_sel:WORD_1 src1_sel:DWORD
	v_mul_f16_sdwa v2, v11, v2 dst_sel:DWORD dst_unused:UNUSED_PAD src0_sel:WORD_1 src1_sel:DWORD
	v_sub_f16_e32 v31, v23, v24
	v_fma_f16 v7, v14, v29, -v7
	v_fma_f16 v2, v11, v22, -v2
	v_mul_f16_e32 v52, 0x3beb, v31
	v_add_f16_e32 v11, v7, v2
	s_mov_b32 s15, 0xb08e
	v_fma_f16 v14, v11, s15, v52
	v_add_f16_e32 v14, v14, v19
	v_mul_f16_sdwa v19, v12, v26 dst_sel:DWORD dst_unused:UNUSED_PAD src0_sel:WORD_1 src1_sel:DWORD
	v_mul_f16_sdwa v22, v13, v30 dst_sel:DWORD dst_unused:UNUSED_PAD src0_sel:WORD_1 src1_sel:DWORD
	v_fma_f16 v19, v12, v3, v19
	v_fma_f16 v22, v13, v6, v22
	v_mul_f16_sdwa v6, v13, v6 dst_sel:DWORD dst_unused:UNUSED_PAD src0_sel:WORD_1 src1_sel:DWORD
	v_mul_f16_sdwa v3, v12, v3 dst_sel:DWORD dst_unused:UNUSED_PAD src0_sel:WORD_1 src1_sel:DWORD
	v_sub_f16_e32 v29, v19, v22
	v_fma_f16 v6, v13, v30, -v6
	v_fma_f16 v3, v12, v26, -v3
	v_mul_f16_e32 v53, 0x3853, v29
	v_add_f16_e32 v12, v6, v3
	s_movk_i32 s16, 0x3abb
	v_fma_f16 v13, v12, s16, v53
	v_sub_f16_e32 v26, v1, v28
	v_add_f16_e32 v13, v13, v14
	v_add_f16_e32 v14, v34, v33
	v_mul_f16_e32 v30, 0xbb47, v26
	v_sub_f16_e32 v56, v4, v20
	v_fma_f16 v54, v14, s2, -v30
	v_add_f16_e32 v55, v38, v37
	v_mul_f16_e32 v57, 0xba0c, v56
	v_add_f16_e32 v54, v0, v54
	v_fma_f16 v58, v55, s12, -v57
	v_sub_f16_e32 v59, v5, v15
	v_add_f16_e32 v54, v58, v54
	v_add_f16_e32 v58, v27, v25
	v_mul_f16_e32 v60, 0x3482, v59
	v_fma_f16 v61, v58, s14, -v60
	v_sub_f16_e32 v62, v2, v7
	v_add_f16_e32 v54, v61, v54
	v_add_f16_e32 v61, v24, v23
	v_mul_f16_e32 v63, 0x3beb, v62
	;; [unrolled: 5-line block ×3, first 2 shown]
	v_fma_f16 v67, v64, s16, -v66
	v_add_f16_e32 v54, v67, v54
	v_mul_f16_e32 v67, 0xbbeb, v35
	v_fma_f16 v68, v8, s15, v67
	v_mul_f16_e32 v69, 0x3482, v49
	v_add_f16_e32 v68, v21, v68
	v_fma_f16 v70, v9, s14, v69
	v_add_f16_e32 v68, v70, v68
	v_mul_f16_e32 v70, 0x3b47, v32
	v_fma_f16 v71, v10, s2, v70
	v_add_f16_e32 v68, v71, v68
	v_mul_f16_e32 v71, 0xb853, v31
	;; [unrolled: 3-line block ×4, first 2 shown]
	v_fma_f16 v74, v14, s15, -v73
	v_mul_f16_e32 v75, 0x3482, v56
	v_add_f16_e32 v74, v0, v74
	v_fma_f16 v76, v55, s14, -v75
	v_add_f16_e32 v74, v76, v74
	v_mul_f16_e32 v76, 0x3b47, v59
	v_fma_f16 v77, v58, s2, -v76
	v_add_f16_e32 v74, v77, v74
	v_mul_f16_e32 v77, 0xb853, v62
	;; [unrolled: 3-line block ×4, first 2 shown]
	v_fma_f16 v80, v8, s12, v79
	v_mul_f16_e32 v81, 0x3beb, v49
	v_add_f16_e32 v80, v21, v80
	v_fma_f16 v82, v9, s15, v81
	v_add_f16_e32 v80, v82, v80
	v_mul_f16_e32 v82, 0xb853, v32
	v_fma_f16 v83, v10, s16, v82
	v_add_f16_e32 v80, v83, v80
	v_mul_f16_e32 v83, 0xb482, v31
	;; [unrolled: 3-line block ×4, first 2 shown]
	v_fma_f16 v86, v14, s12, -v85
	v_mul_f16_e32 v87, 0x3beb, v56
	v_add_f16_e32 v86, v0, v86
	v_fma_f16 v88, v55, s15, -v87
	v_add_f16_e32 v86, v88, v86
	v_mul_f16_e32 v88, 0xb853, v59
	v_fma_f16 v89, v58, s16, -v88
	v_add_f16_e32 v86, v89, v86
	v_mul_f16_e32 v89, 0xb482, v62
	v_fma_f16 v36, v8, s2, -v36
	v_fma_f16 v90, v61, s14, -v89
	v_add_f16_e32 v36, v21, v36
	v_fma_f16 v50, v9, s12, -v50
	v_add_f16_e32 v86, v90, v86
	v_mul_f16_e32 v90, 0x3b47, v65
	v_add_f16_e32 v36, v50, v36
	v_fma_f16 v50, v10, s14, -v51
	v_fma_f16 v91, v64, s2, -v90
	v_add_f16_e32 v36, v50, v36
	v_fma_f16 v50, v11, s15, -v52
	v_add_f16_e32 v86, v91, v86
	v_mul_f16_e32 v91, 0xb482, v35
	v_add_f16_e32 v36, v50, v36
	v_fma_f16 v50, v12, s16, -v53
	v_fma_f16 v30, v14, s2, v30
	v_fma_f16 v92, v8, s14, v91
	v_mul_f16_e32 v93, 0x3853, v49
	v_add_f16_e32 v36, v50, v36
	v_add_f16_e32 v30, v0, v30
	v_fma_f16 v50, v55, s12, v57
	v_add_f16_e32 v92, v21, v92
	v_fma_f16 v94, v9, s16, v93
	;; [unrolled: 2-line block ×3, first 2 shown]
	v_add_f16_e32 v92, v94, v92
	v_mul_f16_e32 v94, 0xba0c, v32
	v_add_f16_e32 v30, v50, v30
	v_fma_f16 v50, v61, s15, v63
	s_movk_i32 s21, 0x3853
	v_fma_f16 v95, v10, s12, v94
	v_fma_f16 v91, v8, s14, -v91
	v_fma_f16 v79, v8, s12, -v79
	;; [unrolled: 1-line block ×3, first 2 shown]
	v_add_f16_e32 v30, v50, v30
	v_fma_f16 v50, v64, s16, v66
	v_mul_f16_e32 v8, 0x3abb, v8
	s_movk_i32 s22, 0x3b47
	v_add_f16_e32 v92, v95, v92
	v_mul_f16_e32 v95, 0x3b47, v31
	v_add_f16_e32 v91, v21, v91
	v_fma_f16 v93, v9, s16, -v93
	v_add_f16_e32 v79, v21, v79
	v_fma_f16 v81, v9, s15, -v81
	;; [unrolled: 2-line block ×3, first 2 shown]
	v_add_f16_e32 v30, v50, v30
	v_fma_f16 v50, v35, s21, v8
	v_mul_f16_e32 v9, 0x36a6, v9
	s_movk_i32 s18, 0x3beb
	v_fma_f16 v96, v11, s2, v95
	v_add_f16_e32 v91, v93, v91
	v_fma_f16 v93, v10, s12, -v94
	v_add_f16_e32 v79, v81, v79
	v_fma_f16 v81, v10, s16, -v82
	;; [unrolled: 2-line block ×3, first 2 shown]
	v_add_f16_e32 v50, v21, v50
	v_fma_f16 v51, v49, s22, v9
	v_mul_f16_e32 v10, 0xb08e, v10
	v_add_f16_e32 v1, v1, v21
	v_add_f16_e32 v92, v96, v92
	v_mul_f16_e32 v96, 0xbbeb, v29
	v_add_f16_e32 v91, v93, v91
	v_fma_f16 v93, v11, s2, -v95
	v_add_f16_e32 v79, v81, v79
	v_fma_f16 v81, v11, s14, -v83
	v_add_f16_e32 v67, v69, v67
	v_fma_f16 v69, v11, s16, -v71
	v_add_f16_e32 v50, v51, v50
	v_fma_f16 v51, v32, s18, v10
	v_mul_f16_e32 v11, 0xb93d, v11
	s_movk_i32 s18, 0x3a0c
	v_add_f16_e32 v1, v4, v1
	s_movk_i32 s17, 0x3482
	s_mov_b32 s20, 0xb853
	v_fma_f16 v97, v12, s15, v96
	v_add_f16_e32 v91, v93, v91
	v_fma_f16 v93, v12, s15, -v96
	v_add_f16_e32 v79, v81, v79
	v_fma_f16 v81, v12, s2, -v84
	;; [unrolled: 2-line block ×3, first 2 shown]
	v_add_f16_e32 v50, v51, v50
	v_fma_f16 v51, v31, s18, v11
	v_mul_f16_e32 v12, 0xbbad, v12
	v_add_f16_e32 v1, v5, v1
	s_mov_b32 s3, 0xbb47
	v_add_f16_e32 v92, v97, v92
	v_mul_f16_e32 v97, 0xb482, v26
	v_add_f16_e32 v50, v51, v50
	v_fma_f16 v51, v29, s17, v12
	v_mul_f16_e32 v26, 0xb853, v26
	v_add_f16_e32 v33, v0, v33
	v_add_f16_e32 v1, v2, v1
	v_fma_f16 v2, v35, s20, v8
	s_mov_b32 s19, 0xbbeb
	v_add_f16_e32 v50, v51, v50
	v_fma_f16 v51, v14, s16, v26
	v_mul_f16_e32 v52, 0xbb47, v56
	v_add_f16_e32 v33, v37, v33
	v_add_f16_e32 v1, v3, v1
	;; [unrolled: 1-line block ×3, first 2 shown]
	v_fma_f16 v3, v49, s3, v9
	s_mov_b32 s13, 0xba0c
	v_add_f16_e32 v51, v0, v51
	v_fma_f16 v53, v55, s2, v52
	v_add_f16_e32 v25, v25, v33
	v_add_f16_e32 v2, v3, v2
	v_fma_f16 v3, v32, s19, v10
	s_mov_b32 s23, 0xb482
	v_fma_f16 v98, v14, s14, -v97
	v_mul_f16_e32 v99, 0x3853, v56
	v_add_f16_e32 v51, v53, v51
	v_mul_f16_e32 v53, 0xbbeb, v59
	v_add_f16_e32 v23, v23, v25
	v_add_f16_e32 v2, v3, v2
	v_fma_f16 v3, v31, s13, v11
	v_add_f16_e32 v98, v0, v98
	v_fma_f16 v100, v55, s16, -v99
	v_fma_f16 v56, v58, s15, v53
	v_add_f16_e32 v19, v19, v23
	v_add_f16_e32 v2, v3, v2
	v_fma_f16 v3, v29, s23, v12
	v_add_f16_e32 v98, v100, v98
	v_mul_f16_e32 v100, 0xba0c, v59
	v_add_f16_e32 v91, v93, v91
	v_fma_f16 v93, v14, s14, v97
	v_add_f16_e32 v79, v81, v79
	v_fma_f16 v81, v14, s12, v85
	v_add_f16_e32 v67, v69, v67
	v_fma_f16 v69, v14, s15, v73
	v_add_f16_e32 v51, v56, v51
	v_mul_f16_e32 v56, 0xba0c, v62
	v_add_f16_e32 v19, v22, v19
	v_add_f16_e32 v1, v6, v1
	;; [unrolled: 1-line block ×3, first 2 shown]
	v_fma_f16 v3, v14, s16, -v26
	v_fma_f16 v101, v58, s12, -v100
	v_add_f16_e32 v93, v0, v93
	v_add_f16_e32 v81, v0, v81
	v_add_f16_e32 v69, v0, v69
	v_fma_f16 v70, v55, s14, v75
	v_fma_f16 v57, v61, s12, v56
	v_add_f16_e32 v19, v24, v19
	v_add_f16_e32 v1, v7, v1
	;; [unrolled: 1-line block ×3, first 2 shown]
	v_fma_f16 v3, v55, s2, -v52
	v_add_f16_e32 v98, v101, v98
	v_mul_f16_e32 v101, 0x3b47, v62
	v_fma_f16 v94, v55, s16, v99
	v_fma_f16 v82, v55, s15, v87
	v_add_f16_e32 v69, v70, v69
	v_fma_f16 v70, v58, s2, v76
	v_add_f16_e32 v51, v57, v51
	v_mul_f16_e32 v57, 0xb482, v65
	v_add_f16_e32 v19, v27, v19
	v_add_f16_e32 v1, v15, v1
	;; [unrolled: 1-line block ×3, first 2 shown]
	v_fma_f16 v3, v58, s15, -v53
	v_fma_f16 v102, v61, s2, -v101
	v_add_f16_e32 v93, v94, v93
	v_fma_f16 v94, v58, s12, v100
	v_add_f16_e32 v81, v82, v81
	v_fma_f16 v82, v58, s16, v88
	;; [unrolled: 2-line block ×3, first 2 shown]
	v_fma_f16 v59, v64, s14, v57
	v_add_f16_e32 v19, v38, v19
	v_add_f16_e32 v1, v20, v1
	;; [unrolled: 1-line block ×3, first 2 shown]
	v_fma_f16 v3, v61, s12, -v56
	v_add_f16_e32 v98, v102, v98
	v_mul_f16_e32 v102, 0xbbeb, v65
	v_add_f16_e32 v93, v94, v93
	v_fma_f16 v94, v61, s2, v101
	v_add_f16_e32 v81, v82, v81
	v_fma_f16 v82, v61, s14, v89
	;; [unrolled: 2-line block ×3, first 2 shown]
	v_add_f16_e32 v51, v59, v51
	v_add_f16_e32 v19, v34, v19
	;; [unrolled: 1-line block ×4, first 2 shown]
	v_fma_f16 v3, v64, s14, -v57
	v_add_f16_e32 v93, v94, v93
	v_fma_f16 v94, v64, s15, v102
	v_add_f16_e32 v81, v82, v81
	v_fma_f16 v82, v64, s2, v90
	v_add_f16_e32 v69, v70, v69
	v_add_f16_e32 v0, v3, v0
	v_pack_b32_f16 v1, v19, v1
	v_pack_b32_f16 v3, v51, v50
	v_fma_f16 v103, v64, s15, -v102
	v_add_f16_e32 v93, v94, v93
	v_add_f16_e32 v81, v82, v81
	ds_write2_b32 v39, v1, v3 offset1:90
	v_pack_b32_f16 v1, v30, v36
	v_pack_b32_f16 v3, v69, v67
	v_add_u32_e32 v4, 0x200, v39
	v_add_f16_e32 v98, v103, v98
	ds_write2_b32 v4, v1, v3 offset0:52 offset1:142
	v_pack_b32_f16 v1, v81, v79
	v_pack_b32_f16 v3, v93, v91
	v_add_u32_e32 v4, 0x400, v39
	ds_write2_b32 v4, v1, v3 offset0:104 offset1:194
	v_pack_b32_f16 v1, v98, v92
	v_pack_b32_f16 v3, v86, v80
	v_add_u32_e32 v4, 0x800, v39
	;; [unrolled: 4-line block ×3, first 2 shown]
	v_pack_b32_f16 v0, v0, v2
	ds_write2_b32 v4, v1, v3 offset0:80 offset1:170
	ds_write_b32 v39, v0 offset:3600
.LBB0_29:
	s_or_b64 exec, exec, s[4:5]
	s_waitcnt lgkmcnt(0)
	s_barrier
	ds_read2_b32 v[2:3], v39 offset1:110
	s_mov_b32 s12, 0xb37565e2
	s_mov_b32 s13, 0x3f508cab
	v_mad_u64_u32 v[4:5], s[2:3], s10, v18, 0
	s_waitcnt lgkmcnt(0)
	v_lshrrev_b32_e32 v7, 16, v2
	v_mul_f16_sdwa v0, v48, v7 dst_sel:DWORD dst_unused:UNUSED_PAD src0_sel:WORD_1 src1_sel:DWORD
	v_fma_f16 v0, v48, v2, v0
	v_cvt_f32_f16_e32 v0, v0
	s_movk_i32 s10, 0x1ff
	v_mad_u64_u32 v[5:6], s[2:3], s11, v18, v[5:6]
	v_cvt_f64_f32_e32 v[0:1], v0
	s_movk_i32 s11, 0xffe
	v_mul_f16_sdwa v2, v48, v2 dst_sel:DWORD dst_unused:UNUSED_PAD src0_sel:WORD_1 src1_sel:DWORD
	v_fma_f16 v2, v48, v7, -v2
	v_mul_f64 v[0:1], v[0:1], s[12:13]
	v_cvt_f32_f16_e32 v7, v2
	v_mov_b32_e32 v2, 0x7c00
	s_movk_i32 s14, 0x40f
	s_mov_b32 s15, 0x8000
	v_lshlrev_b64 v[4:5], 2, v[4:5]
	v_and_or_b32 v0, v1, s10, v0
	v_cmp_ne_u32_e32 vcc, 0, v0
	v_lshrrev_b32_e32 v6, 8, v1
	v_bfe_u32 v8, v1, 20, 11
	v_cndmask_b32_e64 v0, 0, 1, vcc
	v_sub_u32_e32 v9, 0x3f1, v8
	v_and_or_b32 v0, v6, s11, v0
	v_or_b32_e32 v6, 0x1000, v0
	v_med3_i32 v9, v9, 0, 13
	v_lshrrev_b32_e32 v10, v9, v6
	v_lshlrev_b32_e32 v9, v9, v10
	v_cmp_ne_u32_e32 vcc, v9, v6
	v_cndmask_b32_e64 v6, 0, 1, vcc
	v_add_u32_e32 v8, 0xfffffc10, v8
	v_or_b32_e32 v6, v10, v6
	v_lshl_or_b32 v9, v8, 12, v0
	v_cmp_gt_i32_e32 vcc, 1, v8
	v_cndmask_b32_e32 v6, v9, v6, vcc
	v_and_b32_e32 v9, 7, v6
	v_cmp_lt_i32_e32 vcc, 5, v9
	v_cmp_eq_u32_e64 s[2:3], 3, v9
	v_lshrrev_b32_e32 v6, 2, v6
	s_or_b64 vcc, s[2:3], vcc
	v_addc_co_u32_e32 v9, vcc, 0, v6, vcc
	v_cvt_f64_f32_e32 v[6:7], v7
	v_cmp_gt_i32_e32 vcc, 31, v8
	v_cndmask_b32_e32 v9, v2, v9, vcc
	v_cmp_ne_u32_e32 vcc, 0, v0
	v_mul_f64 v[6:7], v[6:7], s[12:13]
	v_cndmask_b32_e64 v0, 0, 1, vcc
	v_lshl_or_b32 v0, v0, 9, v2
	v_cmp_eq_u32_e32 vcc, s14, v8
	v_cndmask_b32_e32 v0, v9, v0, vcc
	v_lshrrev_b32_e32 v1, 16, v1
	v_and_or_b32 v10, v1, s15, v0
	v_and_b32_e32 v10, 0xffff, v10
	v_and_or_b32 v0, v7, s10, v6
	v_cmp_ne_u32_e32 vcc, 0, v0
	v_cndmask_b32_e64 v0, 0, 1, vcc
	v_lshrrev_b32_e32 v1, 8, v7
	v_bfe_u32 v6, v7, 20, 11
	v_and_or_b32 v0, v1, s11, v0
	v_sub_u32_e32 v8, 0x3f1, v6
	v_or_b32_e32 v1, 0x1000, v0
	v_med3_i32 v8, v8, 0, 13
	v_lshrrev_b32_e32 v9, v8, v1
	v_lshlrev_b32_e32 v8, v8, v9
	v_cmp_ne_u32_e32 vcc, v8, v1
	v_cndmask_b32_e64 v1, 0, 1, vcc
	v_add_u32_e32 v6, 0xfffffc10, v6
	v_or_b32_e32 v1, v9, v1
	v_lshl_or_b32 v8, v6, 12, v0
	v_cmp_gt_i32_e32 vcc, 1, v6
	v_cndmask_b32_e32 v1, v8, v1, vcc
	v_and_b32_e32 v8, 7, v1
	v_cmp_lt_i32_e32 vcc, 5, v8
	v_cmp_eq_u32_e64 s[2:3], 3, v8
	v_lshrrev_b32_e32 v1, 2, v1
	s_or_b64 vcc, s[2:3], vcc
	v_addc_co_u32_e32 v1, vcc, 0, v1, vcc
	v_cmp_gt_i32_e32 vcc, 31, v6
	v_cndmask_b32_e32 v1, v2, v1, vcc
	v_cmp_ne_u32_e32 vcc, 0, v0
	v_cndmask_b32_e64 v0, 0, 1, vcc
	v_cmp_eq_u32_e32 vcc, s14, v6
	v_add_u32_e32 v6, 0x600, v39
	ds_read2_b32 v[8:9], v6 offset0:111 offset1:221
	v_lshl_or_b32 v0, v0, 9, v2
	v_cndmask_b32_e32 v11, v1, v0, vcc
	v_mad_u64_u32 v[0:1], s[2:3], s8, v47, 0
	s_waitcnt lgkmcnt(0)
	v_lshrrev_b32_e32 v13, 16, v8
	v_lshrrev_b32_e32 v12, 16, v7
	v_mad_u64_u32 v[6:7], s[2:3], s9, v47, v[1:2]
	v_mul_f16_sdwa v1, v46, v13 dst_sel:DWORD dst_unused:UNUSED_PAD src0_sel:WORD_1 src1_sel:DWORD
	v_fma_f16 v1, v46, v8, v1
	v_cvt_f32_f16_e32 v7, v1
	v_mov_b32_e32 v1, v6
	v_and_or_b32 v11, v12, s15, v11
	v_lshl_or_b32 v10, v11, 16, v10
	v_cvt_f64_f32_e32 v[6:7], v7
	v_mov_b32_e32 v11, s7
	v_add_co_u32_e32 v4, vcc, s6, v4
	v_mul_f64 v[6:7], v[6:7], s[12:13]
	v_lshlrev_b64 v[0:1], 2, v[0:1]
	v_addc_co_u32_e32 v5, vcc, v11, v5, vcc
	v_add_co_u32_e32 v4, vcc, v4, v0
	v_addc_co_u32_e32 v5, vcc, v5, v1, vcc
	v_and_or_b32 v0, v7, s10, v6
	v_cmp_ne_u32_e32 vcc, 0, v0
	v_cndmask_b32_e64 v0, 0, 1, vcc
	v_lshrrev_b32_e32 v1, 8, v7
	v_and_or_b32 v6, v1, s11, v0
	v_bfe_u32 v1, v7, 20, 11
	global_store_dword v[4:5], v10, off
	v_sub_u32_e32 v10, 0x3f1, v1
	v_or_b32_e32 v0, 0x1000, v6
	v_med3_i32 v10, v10, 0, 13
	v_lshrrev_b32_e32 v11, v10, v0
	v_lshlrev_b32_e32 v10, v10, v11
	v_mul_f16_sdwa v8, v46, v8 dst_sel:DWORD dst_unused:UNUSED_PAD src0_sel:WORD_1 src1_sel:DWORD
	v_cmp_ne_u32_e32 vcc, v10, v0
	v_fma_f16 v8, v46, v13, -v8
	v_cndmask_b32_e64 v0, 0, 1, vcc
	v_add_u32_e32 v10, 0xfffffc10, v1
	v_cvt_f32_f16_e32 v8, v8
	v_or_b32_e32 v0, v11, v0
	v_lshl_or_b32 v1, v10, 12, v6
	v_cmp_gt_i32_e32 vcc, 1, v10
	v_cndmask_b32_e32 v0, v1, v0, vcc
	v_and_b32_e32 v1, 7, v0
	v_cmp_lt_i32_e32 vcc, 5, v1
	v_cmp_eq_u32_e64 s[2:3], 3, v1
	v_lshrrev_b32_e32 v11, 2, v0
	v_cvt_f64_f32_e32 v[0:1], v8
	s_or_b64 vcc, s[2:3], vcc
	v_addc_co_u32_e32 v8, vcc, 0, v11, vcc
	v_mul_f64 v[0:1], v[0:1], s[12:13]
	v_cmp_gt_i32_e32 vcc, 31, v10
	v_cndmask_b32_e32 v8, v2, v8, vcc
	v_cmp_ne_u32_e32 vcc, 0, v6
	v_cndmask_b32_e64 v6, 0, 1, vcc
	v_lshl_or_b32 v6, v6, 9, v2
	v_cmp_eq_u32_e32 vcc, s14, v10
	v_cndmask_b32_e32 v6, v8, v6, vcc
	v_and_or_b32 v0, v1, s10, v0
	v_lshrrev_b32_e32 v7, 16, v7
	v_cmp_ne_u32_e32 vcc, 0, v0
	v_and_or_b32 v6, v7, s15, v6
	v_cndmask_b32_e64 v0, 0, 1, vcc
	v_lshrrev_b32_e32 v7, 8, v1
	v_bfe_u32 v8, v1, 20, 11
	v_and_or_b32 v0, v7, s11, v0
	v_sub_u32_e32 v10, 0x3f1, v8
	v_or_b32_e32 v7, 0x1000, v0
	v_med3_i32 v10, v10, 0, 13
	v_lshrrev_b32_e32 v11, v10, v7
	v_lshlrev_b32_e32 v10, v10, v11
	v_cmp_ne_u32_e32 vcc, v10, v7
	v_cndmask_b32_e64 v7, 0, 1, vcc
	v_add_u32_e32 v8, 0xfffffc10, v8
	v_or_b32_e32 v7, v11, v7
	v_lshl_or_b32 v10, v8, 12, v0
	v_cmp_gt_i32_e32 vcc, 1, v8
	v_cndmask_b32_e32 v7, v10, v7, vcc
	v_and_b32_e32 v10, 7, v7
	v_cmp_lt_i32_e32 vcc, 5, v10
	v_cmp_eq_u32_e64 s[2:3], 3, v10
	v_lshrrev_b32_e32 v7, 2, v7
	s_or_b64 vcc, s[2:3], vcc
	v_addc_co_u32_e32 v7, vcc, 0, v7, vcc
	v_cmp_gt_i32_e32 vcc, 31, v8
	v_cndmask_b32_e32 v7, v2, v7, vcc
	v_cmp_ne_u32_e32 vcc, 0, v0
	v_cndmask_b32_e64 v0, 0, 1, vcc
	v_lshl_or_b32 v0, v0, 9, v2
	v_cmp_eq_u32_e32 vcc, s14, v8
	v_cndmask_b32_e32 v0, v7, v0, vcc
	v_lshrrev_b32_e32 v1, 16, v1
	v_lshrrev_b32_e32 v8, 16, v3
	v_and_or_b32 v7, v1, s15, v0
	v_mul_f16_sdwa v0, v45, v8 dst_sel:DWORD dst_unused:UNUSED_PAD src0_sel:WORD_1 src1_sel:DWORD
	v_fma_f16 v0, v45, v3, v0
	v_cvt_f32_f16_e32 v0, v0
	v_and_b32_e32 v6, 0xffff, v6
	v_lshl_or_b32 v10, v7, 16, v6
	s_mul_i32 s2, s9, 0x1ef
	v_cvt_f64_f32_e32 v[0:1], v0
	s_mul_hi_u32 s3, s8, 0x1ef
	s_add_i32 s3, s3, s2
	s_mul_i32 s2, s8, 0x1ef
	v_mul_f64 v[6:7], v[0:1], s[12:13]
	s_lshl_b64 s[6:7], s[2:3], 2
	v_mov_b32_e32 v1, s7
	v_add_co_u32_e32 v4, vcc, s6, v4
	v_addc_co_u32_e32 v5, vcc, v5, v1, vcc
	global_store_dword v[4:5], v10, off
	v_and_or_b32 v0, v7, s10, v6
	v_cmp_ne_u32_e32 vcc, 0, v0
	v_cndmask_b32_e64 v0, 0, 1, vcc
	v_lshrrev_b32_e32 v6, 8, v7
	v_bfe_u32 v10, v7, 20, 11
	v_and_or_b32 v0, v6, s11, v0
	v_sub_u32_e32 v11, 0x3f1, v10
	v_or_b32_e32 v6, 0x1000, v0
	v_med3_i32 v11, v11, 0, 13
	v_lshrrev_b32_e32 v12, v11, v6
	v_lshlrev_b32_e32 v11, v11, v12
	v_cmp_ne_u32_e32 vcc, v11, v6
	v_mul_f16_sdwa v3, v45, v3 dst_sel:DWORD dst_unused:UNUSED_PAD src0_sel:WORD_1 src1_sel:DWORD
	v_cndmask_b32_e64 v6, 0, 1, vcc
	v_fma_f16 v3, v45, v8, -v3
	v_or_b32_e32 v6, v12, v6
	v_add_u32_e32 v12, 0xfffffc10, v10
	v_cvt_f32_f16_e32 v3, v3
	v_lshl_or_b32 v10, v12, 12, v0
	v_cmp_gt_i32_e32 vcc, 1, v12
	v_cndmask_b32_e32 v6, v10, v6, vcc
	v_and_b32_e32 v10, 7, v6
	v_cmp_lt_i32_e32 vcc, 5, v10
	v_cmp_eq_u32_e64 s[2:3], 3, v10
	v_cvt_f64_f32_e32 v[10:11], v3
	v_lshrrev_b32_e32 v6, 2, v6
	s_or_b64 vcc, s[2:3], vcc
	v_addc_co_u32_e32 v3, vcc, 0, v6, vcc
	v_mul_f64 v[10:11], v[10:11], s[12:13]
	v_cmp_gt_i32_e32 vcc, 31, v12
	v_cndmask_b32_e32 v3, v2, v3, vcc
	v_cmp_ne_u32_e32 vcc, 0, v0
	v_cndmask_b32_e64 v0, 0, 1, vcc
	v_lshl_or_b32 v0, v0, 9, v2
	v_cmp_eq_u32_e32 vcc, s14, v12
	v_cndmask_b32_e32 v0, v3, v0, vcc
	v_lshrrev_b32_e32 v3, 16, v7
	v_and_or_b32 v0, v3, s15, v0
	v_and_or_b32 v3, v11, s10, v10
	v_cmp_ne_u32_e32 vcc, 0, v3
	v_cndmask_b32_e64 v3, 0, 1, vcc
	v_lshrrev_b32_e32 v6, 8, v11
	v_bfe_u32 v7, v11, 20, 11
	v_and_or_b32 v3, v6, s11, v3
	v_sub_u32_e32 v8, 0x3f1, v7
	v_or_b32_e32 v6, 0x1000, v3
	v_med3_i32 v8, v8, 0, 13
	v_lshrrev_b32_e32 v10, v8, v6
	v_lshlrev_b32_e32 v8, v8, v10
	v_cmp_ne_u32_e32 vcc, v8, v6
	v_cndmask_b32_e64 v6, 0, 1, vcc
	v_add_u32_e32 v7, 0xfffffc10, v7
	v_or_b32_e32 v6, v10, v6
	v_lshl_or_b32 v8, v7, 12, v3
	v_cmp_gt_i32_e32 vcc, 1, v7
	v_cndmask_b32_e32 v6, v8, v6, vcc
	v_and_b32_e32 v8, 7, v6
	v_cmp_lt_i32_e32 vcc, 5, v8
	v_cmp_eq_u32_e64 s[2:3], 3, v8
	v_lshrrev_b32_e32 v6, 2, v6
	s_or_b64 vcc, s[2:3], vcc
	v_addc_co_u32_e32 v6, vcc, 0, v6, vcc
	v_cmp_gt_i32_e32 vcc, 31, v7
	v_cndmask_b32_e32 v6, v2, v6, vcc
	v_cmp_ne_u32_e32 vcc, 0, v3
	v_cndmask_b32_e64 v3, 0, 1, vcc
	v_lshl_or_b32 v3, v3, 9, v2
	v_cmp_eq_u32_e32 vcc, s14, v7
	v_cndmask_b32_e32 v3, v6, v3, vcc
	v_lshrrev_b32_e32 v6, 16, v11
	v_lshrrev_b32_e32 v8, 16, v9
	v_and_or_b32 v3, v6, s15, v3
	v_mul_f16_sdwa v6, v44, v8 dst_sel:DWORD dst_unused:UNUSED_PAD src0_sel:WORD_1 src1_sel:DWORD
	v_fma_f16 v6, v44, v9, v6
	v_cvt_f32_f16_e32 v6, v6
	s_mul_hi_u32 s3, s8, 0xfffffe7f
	s_mul_i32 s2, s9, 0xfffffe7f
	s_sub_i32 s3, s3, s8
	v_cvt_f64_f32_e32 v[6:7], v6
	s_add_i32 s3, s3, s2
	s_mul_i32 s2, s8, 0xfffffe7f
	v_and_b32_e32 v0, 0xffff, v0
	v_mul_f64 v[6:7], v[6:7], s[12:13]
	s_lshl_b64 s[4:5], s[2:3], 2
	v_lshl_or_b32 v0, v3, 16, v0
	v_mov_b32_e32 v13, s5
	v_add_co_u32_e32 v3, vcc, s4, v4
	v_addc_co_u32_e32 v4, vcc, v5, v13, vcc
	global_store_dword v[3:4], v0, off
	v_and_or_b32 v0, v7, s10, v6
	v_cmp_ne_u32_e32 vcc, 0, v0
	v_cndmask_b32_e64 v0, 0, 1, vcc
	v_lshrrev_b32_e32 v5, 8, v7
	v_bfe_u32 v6, v7, 20, 11
	v_and_or_b32 v0, v5, s11, v0
	v_sub_u32_e32 v10, 0x3f1, v6
	v_or_b32_e32 v5, 0x1000, v0
	v_med3_i32 v10, v10, 0, 13
	v_lshrrev_b32_e32 v11, v10, v5
	v_lshlrev_b32_e32 v10, v10, v11
	v_mul_f16_sdwa v9, v44, v9 dst_sel:DWORD dst_unused:UNUSED_PAD src0_sel:WORD_1 src1_sel:DWORD
	v_cmp_ne_u32_e32 vcc, v10, v5
	v_fma_f16 v8, v44, v8, -v9
	v_cndmask_b32_e64 v5, 0, 1, vcc
	v_add_u32_e32 v10, 0xfffffc10, v6
	v_cvt_f32_f16_e32 v8, v8
	v_or_b32_e32 v5, v11, v5
	v_lshl_or_b32 v6, v10, 12, v0
	v_cmp_gt_i32_e32 vcc, 1, v10
	v_cndmask_b32_e32 v5, v6, v5, vcc
	v_and_b32_e32 v6, 7, v5
	v_cmp_lt_i32_e32 vcc, 5, v6
	v_cmp_eq_u32_e64 s[2:3], 3, v6
	v_lshrrev_b32_e32 v9, 2, v5
	v_cvt_f64_f32_e32 v[5:6], v8
	s_or_b64 vcc, s[2:3], vcc
	v_addc_co_u32_e32 v8, vcc, 0, v9, vcc
	v_mul_f64 v[5:6], v[5:6], s[12:13]
	v_cmp_gt_i32_e32 vcc, 31, v10
	v_cndmask_b32_e32 v8, v2, v8, vcc
	v_cmp_ne_u32_e32 vcc, 0, v0
	v_cndmask_b32_e64 v0, 0, 1, vcc
	v_lshl_or_b32 v0, v0, 9, v2
	v_cmp_eq_u32_e32 vcc, s14, v10
	v_cndmask_b32_e32 v0, v8, v0, vcc
	v_and_or_b32 v5, v6, s10, v5
	v_lshrrev_b32_e32 v7, 16, v7
	v_cmp_ne_u32_e32 vcc, 0, v5
	v_and_or_b32 v0, v7, s15, v0
	v_cndmask_b32_e64 v5, 0, 1, vcc
	v_lshrrev_b32_e32 v7, 8, v6
	v_bfe_u32 v8, v6, 20, 11
	v_and_or_b32 v5, v7, s11, v5
	v_sub_u32_e32 v9, 0x3f1, v8
	v_or_b32_e32 v7, 0x1000, v5
	v_med3_i32 v9, v9, 0, 13
	v_lshrrev_b32_e32 v10, v9, v7
	v_lshlrev_b32_e32 v9, v9, v10
	v_cmp_ne_u32_e32 vcc, v9, v7
	v_cndmask_b32_e64 v7, 0, 1, vcc
	v_add_u32_e32 v11, 0xfffffc10, v8
	v_or_b32_e32 v7, v10, v7
	v_lshl_or_b32 v8, v11, 12, v5
	v_cmp_gt_i32_e32 vcc, 1, v11
	v_cndmask_b32_e32 v7, v8, v7, vcc
	v_and_b32_e32 v8, 7, v7
	v_lshrrev_b32_e32 v9, 2, v7
	v_add_u32_e32 v7, 0x200, v39
	v_cmp_lt_i32_e32 vcc, 5, v8
	v_cmp_eq_u32_e64 s[2:3], 3, v8
	ds_read2_b32 v[7:8], v7 offset0:92 offset1:202
	s_or_b64 vcc, s[2:3], vcc
	v_addc_co_u32_e32 v9, vcc, 0, v9, vcc
	v_cmp_gt_i32_e32 vcc, 31, v11
	s_waitcnt lgkmcnt(0)
	v_lshrrev_b32_e32 v14, 16, v7
	v_cndmask_b32_e32 v12, v2, v9, vcc
	v_mul_f16_sdwa v9, v43, v14 dst_sel:DWORD dst_unused:UNUSED_PAD src0_sel:WORD_1 src1_sel:DWORD
	v_fma_f16 v9, v43, v7, v9
	v_cvt_f32_f16_e32 v9, v9
	v_cmp_ne_u32_e32 vcc, 0, v5
	v_cndmask_b32_e64 v5, 0, 1, vcc
	v_lshl_or_b32 v5, v5, 9, v2
	v_cvt_f64_f32_e32 v[9:10], v9
	v_cmp_eq_u32_e32 vcc, s14, v11
	v_cndmask_b32_e32 v5, v12, v5, vcc
	v_lshrrev_b32_e32 v6, 16, v6
	v_and_or_b32 v11, v6, s15, v5
	v_mul_f64 v[5:6], v[9:10], s[12:13]
	v_and_b32_e32 v0, 0xffff, v0
	v_add_co_u32_e32 v3, vcc, s6, v3
	v_lshl_or_b32 v0, v11, 16, v0
	v_addc_co_u32_e32 v4, vcc, v4, v1, vcc
	global_store_dword v[3:4], v0, off
	v_and_or_b32 v0, v6, s10, v5
	v_cmp_ne_u32_e32 vcc, 0, v0
	v_cndmask_b32_e64 v0, 0, 1, vcc
	v_lshrrev_b32_e32 v5, 8, v6
	v_bfe_u32 v9, v6, 20, 11
	v_and_or_b32 v0, v5, s11, v0
	v_sub_u32_e32 v10, 0x3f1, v9
	v_or_b32_e32 v5, 0x1000, v0
	v_med3_i32 v10, v10, 0, 13
	v_lshrrev_b32_e32 v11, v10, v5
	v_lshlrev_b32_e32 v10, v10, v11
	v_cmp_ne_u32_e32 vcc, v10, v5
	v_mul_f16_sdwa v7, v43, v7 dst_sel:DWORD dst_unused:UNUSED_PAD src0_sel:WORD_1 src1_sel:DWORD
	v_cndmask_b32_e64 v5, 0, 1, vcc
	v_fma_f16 v7, v43, v14, -v7
	v_or_b32_e32 v5, v11, v5
	v_add_u32_e32 v11, 0xfffffc10, v9
	v_cvt_f32_f16_e32 v7, v7
	v_lshl_or_b32 v9, v11, 12, v0
	v_cmp_gt_i32_e32 vcc, 1, v11
	v_cndmask_b32_e32 v5, v9, v5, vcc
	v_and_b32_e32 v9, 7, v5
	v_cmp_lt_i32_e32 vcc, 5, v9
	v_cmp_eq_u32_e64 s[2:3], 3, v9
	v_cvt_f64_f32_e32 v[9:10], v7
	v_lshrrev_b32_e32 v5, 2, v5
	s_or_b64 vcc, s[2:3], vcc
	v_addc_co_u32_e32 v5, vcc, 0, v5, vcc
	v_mul_f64 v[9:10], v[9:10], s[12:13]
	v_cmp_gt_i32_e32 vcc, 31, v11
	v_cndmask_b32_e32 v5, v2, v5, vcc
	v_cmp_ne_u32_e32 vcc, 0, v0
	v_cndmask_b32_e64 v0, 0, 1, vcc
	v_lshl_or_b32 v0, v0, 9, v2
	v_cmp_eq_u32_e32 vcc, s14, v11
	v_cndmask_b32_e32 v0, v5, v0, vcc
	v_lshrrev_b32_e32 v5, 16, v6
	v_and_or_b32 v0, v5, s15, v0
	v_and_or_b32 v5, v10, s10, v9
	v_cmp_ne_u32_e32 vcc, 0, v5
	v_cndmask_b32_e64 v5, 0, 1, vcc
	v_lshrrev_b32_e32 v6, 8, v10
	v_and_or_b32 v7, v6, s11, v5
	v_bfe_u32 v6, v10, 20, 11
	v_sub_u32_e32 v9, 0x3f1, v6
	v_or_b32_e32 v5, 0x1000, v7
	v_med3_i32 v9, v9, 0, 13
	v_lshrrev_b32_e32 v11, v9, v5
	v_lshlrev_b32_e32 v9, v9, v11
	v_cmp_ne_u32_e32 vcc, v9, v5
	v_cndmask_b32_e64 v5, 0, 1, vcc
	v_add_u32_e32 v9, 0xfffffc10, v6
	v_or_b32_e32 v5, v11, v5
	v_lshl_or_b32 v6, v9, 12, v7
	v_cmp_gt_i32_e32 vcc, 1, v9
	v_cndmask_b32_e32 v5, v6, v5, vcc
	v_and_b32_e32 v6, 7, v5
	v_lshrrev_b32_e32 v11, 2, v5
	v_add_u32_e32 v5, 0xa00, v39
	v_cmp_lt_i32_e32 vcc, 5, v6
	v_cmp_eq_u32_e64 s[2:3], 3, v6
	ds_read2_b32 v[5:6], v5 offset0:75 offset1:185
	s_or_b64 vcc, s[2:3], vcc
	v_addc_co_u32_e32 v11, vcc, 0, v11, vcc
	v_cmp_gt_i32_e32 vcc, 31, v9
	s_waitcnt lgkmcnt(0)
	v_lshrrev_b32_e32 v15, 16, v5
	v_cndmask_b32_e32 v14, v2, v11, vcc
	v_mul_f16_sdwa v11, v42, v15 dst_sel:DWORD dst_unused:UNUSED_PAD src0_sel:WORD_1 src1_sel:DWORD
	v_fma_f16 v11, v42, v5, v11
	v_cvt_f32_f16_e32 v11, v11
	v_cmp_ne_u32_e32 vcc, 0, v7
	v_cndmask_b32_e64 v7, 0, 1, vcc
	v_lshl_or_b32 v7, v7, 9, v2
	v_cvt_f64_f32_e32 v[11:12], v11
	v_cmp_eq_u32_e32 vcc, s14, v9
	v_cndmask_b32_e32 v7, v14, v7, vcc
	v_lshrrev_b32_e32 v9, 16, v10
	v_and_or_b32 v7, v9, s15, v7
	v_mul_f64 v[9:10], v[11:12], s[12:13]
	v_and_b32_e32 v0, 0xffff, v0
	v_add_co_u32_e32 v3, vcc, s4, v3
	v_lshl_or_b32 v0, v7, 16, v0
	v_addc_co_u32_e32 v4, vcc, v4, v13, vcc
	global_store_dword v[3:4], v0, off
	v_and_or_b32 v0, v10, s10, v9
	v_cmp_ne_u32_e32 vcc, 0, v0
	v_cndmask_b32_e64 v0, 0, 1, vcc
	v_lshrrev_b32_e32 v7, 8, v10
	v_bfe_u32 v9, v10, 20, 11
	v_and_or_b32 v0, v7, s11, v0
	v_sub_u32_e32 v11, 0x3f1, v9
	v_or_b32_e32 v7, 0x1000, v0
	v_med3_i32 v11, v11, 0, 13
	v_lshrrev_b32_e32 v12, v11, v7
	v_lshlrev_b32_e32 v11, v11, v12
	v_mul_f16_sdwa v5, v42, v5 dst_sel:DWORD dst_unused:UNUSED_PAD src0_sel:WORD_1 src1_sel:DWORD
	v_cmp_ne_u32_e32 vcc, v11, v7
	v_fma_f16 v5, v42, v15, -v5
	v_cndmask_b32_e64 v7, 0, 1, vcc
	v_add_u32_e32 v9, 0xfffffc10, v9
	v_cvt_f32_f16_e32 v5, v5
	v_or_b32_e32 v7, v12, v7
	v_lshl_or_b32 v11, v9, 12, v0
	v_cmp_gt_i32_e32 vcc, 1, v9
	v_cndmask_b32_e32 v7, v11, v7, vcc
	v_and_b32_e32 v11, 7, v7
	v_cmp_lt_i32_e32 vcc, 5, v11
	v_cmp_eq_u32_e64 s[2:3], 3, v11
	v_cvt_f64_f32_e32 v[11:12], v5
	v_lshrrev_b32_e32 v7, 2, v7
	s_or_b64 vcc, s[2:3], vcc
	v_addc_co_u32_e32 v5, vcc, 0, v7, vcc
	v_mul_f64 v[11:12], v[11:12], s[12:13]
	v_cmp_gt_i32_e32 vcc, 31, v9
	v_cndmask_b32_e32 v5, v2, v5, vcc
	v_cmp_ne_u32_e32 vcc, 0, v0
	v_cndmask_b32_e64 v0, 0, 1, vcc
	v_lshl_or_b32 v0, v0, 9, v2
	v_cmp_eq_u32_e32 vcc, s14, v9
	v_cndmask_b32_e32 v0, v5, v0, vcc
	v_lshrrev_b32_e32 v5, 16, v10
	v_and_or_b32 v0, v5, s15, v0
	v_and_or_b32 v5, v12, s10, v11
	v_cmp_ne_u32_e32 vcc, 0, v5
	v_cndmask_b32_e64 v5, 0, 1, vcc
	v_lshrrev_b32_e32 v7, 8, v12
	v_bfe_u32 v9, v12, 20, 11
	v_and_or_b32 v5, v7, s11, v5
	v_sub_u32_e32 v10, 0x3f1, v9
	v_or_b32_e32 v7, 0x1000, v5
	v_med3_i32 v10, v10, 0, 13
	v_lshrrev_b32_e32 v11, v10, v7
	v_lshlrev_b32_e32 v10, v10, v11
	v_cmp_ne_u32_e32 vcc, v10, v7
	v_cndmask_b32_e64 v7, 0, 1, vcc
	v_or_b32_e32 v7, v11, v7
	v_add_u32_e32 v11, 0xfffffc10, v9
	v_lshl_or_b32 v9, v11, 12, v5
	v_cmp_gt_i32_e32 vcc, 1, v11
	v_cndmask_b32_e32 v7, v9, v7, vcc
	v_and_b32_e32 v9, 7, v7
	v_lshrrev_b32_e32 v14, 16, v8
	v_cmp_lt_i32_e32 vcc, 5, v9
	v_cmp_eq_u32_e64 s[2:3], 3, v9
	v_mul_f16_sdwa v9, v41, v14 dst_sel:DWORD dst_unused:UNUSED_PAD src0_sel:WORD_1 src1_sel:DWORD
	v_fma_f16 v9, v41, v8, v9
	v_cvt_f32_f16_e32 v9, v9
	v_lshrrev_b32_e32 v7, 2, v7
	s_or_b64 vcc, s[2:3], vcc
	v_addc_co_u32_e32 v7, vcc, 0, v7, vcc
	v_cvt_f64_f32_e32 v[9:10], v9
	v_cmp_gt_i32_e32 vcc, 31, v11
	v_cndmask_b32_e32 v7, v2, v7, vcc
	v_cmp_ne_u32_e32 vcc, 0, v5
	v_mul_f64 v[9:10], v[9:10], s[12:13]
	v_cndmask_b32_e64 v5, 0, 1, vcc
	v_lshl_or_b32 v5, v5, 9, v2
	v_cmp_eq_u32_e32 vcc, s14, v11
	v_cndmask_b32_e32 v5, v7, v5, vcc
	v_lshrrev_b32_e32 v7, 16, v12
	v_and_or_b32 v5, v7, s15, v5
	v_and_b32_e32 v0, 0xffff, v0
	v_add_co_u32_e32 v3, vcc, s6, v3
	v_lshl_or_b32 v0, v5, 16, v0
	v_addc_co_u32_e32 v4, vcc, v4, v1, vcc
	global_store_dword v[3:4], v0, off
	v_and_or_b32 v0, v10, s10, v9
	v_cmp_ne_u32_e32 vcc, 0, v0
	v_cndmask_b32_e64 v0, 0, 1, vcc
	v_lshrrev_b32_e32 v5, 8, v10
	v_bfe_u32 v7, v10, 20, 11
	v_and_or_b32 v0, v5, s11, v0
	v_sub_u32_e32 v9, 0x3f1, v7
	v_or_b32_e32 v5, 0x1000, v0
	v_med3_i32 v9, v9, 0, 13
	v_lshrrev_b32_e32 v11, v9, v5
	v_lshlrev_b32_e32 v9, v9, v11
	v_mul_f16_sdwa v8, v41, v8 dst_sel:DWORD dst_unused:UNUSED_PAD src0_sel:WORD_1 src1_sel:DWORD
	v_cmp_ne_u32_e32 vcc, v9, v5
	v_fma_f16 v8, v41, v14, -v8
	v_cndmask_b32_e64 v5, 0, 1, vcc
	v_add_u32_e32 v9, 0xfffffc10, v7
	v_cvt_f32_f16_e32 v8, v8
	v_or_b32_e32 v5, v11, v5
	v_lshl_or_b32 v7, v9, 12, v0
	v_cmp_gt_i32_e32 vcc, 1, v9
	v_cndmask_b32_e32 v5, v7, v5, vcc
	v_and_b32_e32 v7, 7, v5
	v_cmp_lt_i32_e32 vcc, 5, v7
	v_cmp_eq_u32_e64 s[2:3], 3, v7
	v_cvt_f64_f32_e32 v[7:8], v8
	v_lshrrev_b32_e32 v5, 2, v5
	s_or_b64 vcc, s[2:3], vcc
	v_addc_co_u32_e32 v5, vcc, 0, v5, vcc
	v_mul_f64 v[7:8], v[7:8], s[12:13]
	v_cmp_gt_i32_e32 vcc, 31, v9
	v_cndmask_b32_e32 v5, v2, v5, vcc
	v_cmp_ne_u32_e32 vcc, 0, v0
	v_cndmask_b32_e64 v0, 0, 1, vcc
	v_lshl_or_b32 v0, v0, 9, v2
	v_cmp_eq_u32_e32 vcc, s14, v9
	v_cndmask_b32_e32 v0, v5, v0, vcc
	v_lshrrev_b32_e32 v5, 16, v10
	v_and_or_b32 v0, v5, s15, v0
	v_and_or_b32 v5, v8, s10, v7
	v_cmp_ne_u32_e32 vcc, 0, v5
	v_cndmask_b32_e64 v5, 0, 1, vcc
	v_lshrrev_b32_e32 v7, 8, v8
	v_bfe_u32 v9, v8, 20, 11
	v_and_or_b32 v5, v7, s11, v5
	v_sub_u32_e32 v10, 0x3f1, v9
	v_or_b32_e32 v7, 0x1000, v5
	v_med3_i32 v10, v10, 0, 13
	v_lshrrev_b32_e32 v11, v10, v7
	v_lshlrev_b32_e32 v10, v10, v11
	v_cmp_ne_u32_e32 vcc, v10, v7
	v_cndmask_b32_e64 v7, 0, 1, vcc
	v_or_b32_e32 v7, v11, v7
	v_add_u32_e32 v11, 0xfffffc10, v9
	v_lshl_or_b32 v9, v11, 12, v5
	v_cmp_gt_i32_e32 vcc, 1, v11
	v_cndmask_b32_e32 v7, v9, v7, vcc
	v_and_b32_e32 v9, 7, v7
	v_lshrrev_b32_e32 v12, 16, v6
	v_cmp_lt_i32_e32 vcc, 5, v9
	v_cmp_eq_u32_e64 s[2:3], 3, v9
	v_mul_f16_sdwa v9, v40, v12 dst_sel:DWORD dst_unused:UNUSED_PAD src0_sel:WORD_1 src1_sel:DWORD
	v_fma_f16 v9, v40, v6, v9
	v_cvt_f32_f16_e32 v9, v9
	v_lshrrev_b32_e32 v7, 2, v7
	s_or_b64 vcc, s[2:3], vcc
	v_addc_co_u32_e32 v7, vcc, 0, v7, vcc
	v_cmp_gt_i32_e32 vcc, 31, v11
	v_cndmask_b32_e32 v7, v2, v7, vcc
	v_cmp_ne_u32_e32 vcc, 0, v5
	v_cvt_f64_f32_e32 v[9:10], v9
	v_cndmask_b32_e64 v5, 0, 1, vcc
	v_lshl_or_b32 v5, v5, 9, v2
	v_cmp_eq_u32_e32 vcc, s14, v11
	v_cndmask_b32_e32 v5, v7, v5, vcc
	v_lshrrev_b32_e32 v7, 16, v8
	v_and_or_b32 v5, v7, s15, v5
	v_mul_f64 v[7:8], v[9:10], s[12:13]
	v_and_b32_e32 v0, 0xffff, v0
	v_add_co_u32_e32 v3, vcc, s4, v3
	v_lshl_or_b32 v0, v5, 16, v0
	v_addc_co_u32_e32 v4, vcc, v4, v13, vcc
	global_store_dword v[3:4], v0, off
	v_and_or_b32 v0, v8, s10, v7
	v_cmp_ne_u32_e32 vcc, 0, v0
	v_cndmask_b32_e64 v0, 0, 1, vcc
	v_lshrrev_b32_e32 v5, 8, v8
	v_bfe_u32 v7, v8, 20, 11
	v_and_or_b32 v0, v5, s11, v0
	v_sub_u32_e32 v9, 0x3f1, v7
	v_or_b32_e32 v5, 0x1000, v0
	v_med3_i32 v9, v9, 0, 13
	v_lshrrev_b32_e32 v10, v9, v5
	v_lshlrev_b32_e32 v9, v9, v10
	v_mul_f16_sdwa v6, v40, v6 dst_sel:DWORD dst_unused:UNUSED_PAD src0_sel:WORD_1 src1_sel:DWORD
	v_cmp_ne_u32_e32 vcc, v9, v5
	v_fma_f16 v6, v40, v12, -v6
	v_cndmask_b32_e64 v5, 0, 1, vcc
	v_add_u32_e32 v7, 0xfffffc10, v7
	v_cvt_f32_f16_e32 v6, v6
	v_or_b32_e32 v5, v10, v5
	v_lshl_or_b32 v9, v7, 12, v0
	v_cmp_gt_i32_e32 vcc, 1, v7
	v_cndmask_b32_e32 v5, v9, v5, vcc
	v_and_b32_e32 v9, 7, v5
	v_cmp_lt_i32_e32 vcc, 5, v9
	v_cmp_eq_u32_e64 s[2:3], 3, v9
	v_lshrrev_b32_e32 v9, 2, v5
	v_cvt_f64_f32_e32 v[5:6], v6
	s_or_b64 vcc, s[2:3], vcc
	v_addc_co_u32_e32 v9, vcc, 0, v9, vcc
	v_mul_f64 v[5:6], v[5:6], s[12:13]
	v_cmp_gt_i32_e32 vcc, 31, v7
	v_cndmask_b32_e32 v9, v2, v9, vcc
	v_cmp_ne_u32_e32 vcc, 0, v0
	v_cndmask_b32_e64 v0, 0, 1, vcc
	v_lshl_or_b32 v0, v0, 9, v2
	v_cmp_eq_u32_e32 vcc, s14, v7
	v_cndmask_b32_e32 v0, v9, v0, vcc
	v_and_or_b32 v5, v6, s10, v5
	v_lshrrev_b32_e32 v7, 16, v8
	v_cmp_ne_u32_e32 vcc, 0, v5
	v_and_or_b32 v0, v7, s15, v0
	v_cndmask_b32_e64 v5, 0, 1, vcc
	v_lshrrev_b32_e32 v7, 8, v6
	v_bfe_u32 v8, v6, 20, 11
	v_and_or_b32 v5, v7, s11, v5
	v_sub_u32_e32 v9, 0x3f1, v8
	v_or_b32_e32 v7, 0x1000, v5
	v_med3_i32 v9, v9, 0, 13
	v_lshrrev_b32_e32 v10, v9, v7
	v_lshlrev_b32_e32 v9, v9, v10
	v_cmp_ne_u32_e32 vcc, v9, v7
	v_cndmask_b32_e64 v7, 0, 1, vcc
	v_add_u32_e32 v8, 0xfffffc10, v8
	v_or_b32_e32 v7, v10, v7
	v_lshl_or_b32 v9, v8, 12, v5
	v_cmp_gt_i32_e32 vcc, 1, v8
	v_cndmask_b32_e32 v7, v9, v7, vcc
	v_and_b32_e32 v9, 7, v7
	v_cmp_lt_i32_e32 vcc, 5, v9
	v_cmp_eq_u32_e64 s[2:3], 3, v9
	v_lshrrev_b32_e32 v7, 2, v7
	s_or_b64 vcc, s[2:3], vcc
	v_addc_co_u32_e32 v7, vcc, 0, v7, vcc
	v_cmp_gt_i32_e32 vcc, 31, v8
	v_cndmask_b32_e32 v7, v2, v7, vcc
	v_cmp_ne_u32_e32 vcc, 0, v5
	v_cndmask_b32_e64 v5, 0, 1, vcc
	v_lshl_or_b32 v5, v5, 9, v2
	v_cmp_eq_u32_e32 vcc, s14, v8
	v_cndmask_b32_e32 v5, v7, v5, vcc
	v_lshrrev_b32_e32 v6, 16, v6
	v_and_or_b32 v5, v6, s15, v5
	v_and_b32_e32 v0, 0xffff, v0
	v_lshl_or_b32 v5, v5, 16, v0
	v_add_co_u32_e32 v0, vcc, s6, v3
	v_addc_co_u32_e32 v1, vcc, v4, v1, vcc
	global_store_dword v[0:1], v5, off
	s_and_b64 exec, exec, s[0:1]
	s_cbranch_execz .LBB0_31
; %bb.30:
	global_load_dword v3, v[16:17], off offset:1760
	global_load_dword v9, v[16:17], off offset:3740
	ds_read_b32 v4, v39 offset:1760
	ds_read_b32 v10, v39 offset:3740
	v_mov_b32_e32 v12, s5
	v_add_co_u32_e32 v0, vcc, s4, v0
	s_waitcnt lgkmcnt(1)
	v_lshrrev_b32_e32 v5, 16, v4
	s_waitcnt lgkmcnt(0)
	v_lshrrev_b32_e32 v11, 16, v10
	v_addc_co_u32_e32 v1, vcc, v1, v12, vcc
	s_waitcnt vmcnt(1)
	v_mul_f16_sdwa v6, v5, v3 dst_sel:DWORD dst_unused:UNUSED_PAD src0_sel:DWORD src1_sel:WORD_1
	v_mul_f16_sdwa v7, v4, v3 dst_sel:DWORD dst_unused:UNUSED_PAD src0_sel:DWORD src1_sel:WORD_1
	v_fma_f16 v4, v4, v3, v6
	s_waitcnt vmcnt(0)
	v_mul_f16_sdwa v8, v11, v9 dst_sel:DWORD dst_unused:UNUSED_PAD src0_sel:DWORD src1_sel:WORD_1
	v_cvt_f32_f16_e32 v4, v4
	v_fma_f16 v3, v3, v5, -v7
	v_cvt_f32_f16_e32 v5, v3
	v_fma_f16 v6, v10, v9, v8
	v_cvt_f32_f16_e32 v7, v6
	v_cvt_f64_f32_e32 v[3:4], v4
	v_cvt_f64_f32_e32 v[5:6], v5
	;; [unrolled: 1-line block ×3, first 2 shown]
	v_mul_f64 v[3:4], v[3:4], s[12:13]
	v_mul_f64 v[5:6], v[5:6], s[12:13]
	;; [unrolled: 1-line block ×3, first 2 shown]
	v_and_or_b32 v3, v4, s10, v3
	v_and_or_b32 v5, v6, s10, v5
	v_cmp_ne_u32_e32 vcc, 0, v3
	v_lshrrev_b32_e32 v12, 8, v4
	v_bfe_u32 v13, v4, 20, 11
	v_and_or_b32 v7, v8, s10, v7
	v_cndmask_b32_e64 v3, 0, 1, vcc
	v_cmp_ne_u32_e32 vcc, 0, v5
	v_lshrrev_b32_e32 v14, 8, v6
	v_bfe_u32 v15, v6, 20, 11
	v_bfe_u32 v17, v8, 20, 11
	v_sub_u32_e32 v18, 0x3f1, v13
	v_cndmask_b32_e64 v5, 0, 1, vcc
	v_cmp_ne_u32_e32 vcc, 0, v7
	v_and_or_b32 v3, v12, s11, v3
	v_lshrrev_b32_e32 v16, 8, v8
	v_sub_u32_e32 v19, 0x3f1, v15
	v_cndmask_b32_e64 v7, 0, 1, vcc
	v_sub_u32_e32 v20, 0x3f1, v17
	v_med3_i32 v12, v18, 0, 13
	v_and_or_b32 v5, v14, s11, v5
	v_or_b32_e32 v18, 0x1000, v3
	v_add_u32_e32 v13, 0xfffffc10, v13
	v_med3_i32 v14, v19, 0, 13
	v_and_or_b32 v7, v16, s11, v7
	v_med3_i32 v16, v20, 0, 13
	v_cmp_ne_u32_e32 vcc, 0, v3
	v_or_b32_e32 v20, 0x1000, v5
	v_lshrrev_b32_e32 v24, v12, v18
	v_add_u32_e32 v15, 0xfffffc10, v15
	v_lshl_or_b32 v19, v13, 12, v3
	v_cndmask_b32_e64 v3, 0, 1, vcc
	v_cmp_ne_u32_e32 vcc, 0, v5
	v_or_b32_e32 v22, 0x1000, v7
	v_lshrrev_b32_e32 v25, v14, v20
	v_lshlrev_b32_e32 v12, v12, v24
	v_lshl_or_b32 v21, v15, 12, v5
	v_cndmask_b32_e64 v5, 0, 1, vcc
	v_lshrrev_b32_e32 v26, v16, v22
	v_lshlrev_b32_e32 v14, v14, v25
	v_cmp_ne_u32_e32 vcc, v12, v18
	v_lshlrev_b32_e32 v16, v16, v26
	v_cndmask_b32_e64 v12, 0, 1, vcc
	v_cmp_ne_u32_e32 vcc, v14, v20
	v_cndmask_b32_e64 v14, 0, 1, vcc
	v_cmp_ne_u32_e32 vcc, v16, v22
	v_cndmask_b32_e64 v16, 0, 1, vcc
	v_or_b32_e32 v12, v24, v12
	v_cmp_gt_i32_e32 vcc, 1, v13
	v_add_u32_e32 v17, 0xfffffc10, v17
	v_or_b32_e32 v14, v25, v14
	v_cndmask_b32_e32 v12, v19, v12, vcc
	v_cmp_gt_i32_e32 vcc, 1, v15
	v_lshl_or_b32 v23, v17, 12, v7
	v_or_b32_e32 v16, v26, v16
	v_cndmask_b32_e32 v14, v21, v14, vcc
	v_cmp_gt_i32_e32 vcc, 1, v17
	v_and_b32_e32 v18, 7, v12
	v_cndmask_b32_e32 v16, v23, v16, vcc
	v_cmp_lt_i32_e32 vcc, 5, v18
	v_cmp_eq_u32_e64 s[0:1], 3, v18
	v_lshrrev_b32_e32 v12, 2, v12
	v_and_b32_e32 v19, 7, v14
	s_or_b64 vcc, s[0:1], vcc
	v_cmp_lt_i32_e64 s[2:3], 5, v19
	v_cmp_eq_u32_e64 s[4:5], 3, v19
	v_addc_co_u32_e32 v12, vcc, 0, v12, vcc
	v_lshrrev_b32_e32 v14, 2, v14
	s_or_b64 vcc, s[4:5], s[2:3]
	v_addc_co_u32_e32 v14, vcc, 0, v14, vcc
	v_cmp_gt_i32_e32 vcc, 31, v13
	v_cndmask_b32_e32 v12, v2, v12, vcc
	v_cmp_gt_i32_e32 vcc, 31, v15
	v_lshl_or_b32 v3, v3, 9, v2
	v_cndmask_b32_e32 v14, v2, v14, vcc
	v_cmp_eq_u32_e32 vcc, s14, v13
	v_lshrrev_b32_e32 v4, 16, v4
	v_lshl_or_b32 v5, v5, 9, v2
	v_cndmask_b32_e32 v3, v12, v3, vcc
	v_cmp_eq_u32_e32 vcc, s14, v15
	v_lshrrev_b32_e32 v6, 16, v6
	v_cndmask_b32_e32 v5, v14, v5, vcc
	v_and_or_b32 v3, v4, s15, v3
	v_and_or_b32 v4, v6, s15, v5
	v_and_b32_e32 v3, 0xffff, v3
	v_lshl_or_b32 v3, v4, 16, v3
	global_store_dword v[0:1], v3, off
	v_mul_f16_sdwa v3, v10, v9 dst_sel:DWORD dst_unused:UNUSED_PAD src0_sel:DWORD src1_sel:WORD_1
	v_fma_f16 v3, v9, v11, -v3
	v_cvt_f32_f16_e32 v3, v3
	v_and_b32_e32 v20, 7, v16
	v_cmp_lt_i32_e32 vcc, 5, v20
	v_cmp_eq_u32_e64 s[0:1], 3, v20
	v_cvt_f64_f32_e32 v[3:4], v3
	v_lshrrev_b32_e32 v5, 2, v16
	s_or_b64 vcc, s[0:1], vcc
	v_addc_co_u32_e32 v5, vcc, 0, v5, vcc
	v_mul_f64 v[3:4], v[3:4], s[12:13]
	v_cmp_gt_i32_e32 vcc, 31, v17
	v_cndmask_b32_e32 v5, v2, v5, vcc
	v_cmp_ne_u32_e32 vcc, 0, v7
	v_cndmask_b32_e64 v6, 0, 1, vcc
	v_lshl_or_b32 v6, v6, 9, v2
	v_cmp_eq_u32_e32 vcc, s14, v17
	v_cndmask_b32_e32 v5, v5, v6, vcc
	v_and_or_b32 v3, v4, s10, v3
	v_lshrrev_b32_e32 v6, 16, v8
	v_cmp_ne_u32_e32 vcc, 0, v3
	v_and_or_b32 v5, v6, s15, v5
	v_cndmask_b32_e64 v3, 0, 1, vcc
	v_lshrrev_b32_e32 v6, 8, v4
	v_bfe_u32 v7, v4, 20, 11
	v_and_or_b32 v3, v6, s11, v3
	v_sub_u32_e32 v8, 0x3f1, v7
	v_or_b32_e32 v6, 0x1000, v3
	v_med3_i32 v8, v8, 0, 13
	v_lshrrev_b32_e32 v9, v8, v6
	v_lshlrev_b32_e32 v8, v8, v9
	v_cmp_ne_u32_e32 vcc, v8, v6
	v_cndmask_b32_e64 v6, 0, 1, vcc
	v_add_u32_e32 v7, 0xfffffc10, v7
	v_or_b32_e32 v6, v9, v6
	v_lshl_or_b32 v8, v7, 12, v3
	v_cmp_gt_i32_e32 vcc, 1, v7
	v_cndmask_b32_e32 v6, v8, v6, vcc
	v_and_b32_e32 v8, 7, v6
	v_cmp_lt_i32_e32 vcc, 5, v8
	v_cmp_eq_u32_e64 s[0:1], 3, v8
	v_lshrrev_b32_e32 v6, 2, v6
	s_or_b64 vcc, s[0:1], vcc
	v_addc_co_u32_e32 v6, vcc, 0, v6, vcc
	v_cmp_gt_i32_e32 vcc, 31, v7
	v_cndmask_b32_e32 v6, v2, v6, vcc
	v_cmp_ne_u32_e32 vcc, 0, v3
	v_cndmask_b32_e64 v3, 0, 1, vcc
	v_lshl_or_b32 v2, v3, 9, v2
	v_cmp_eq_u32_e32 vcc, s14, v7
	v_cndmask_b32_e32 v2, v6, v2, vcc
	v_lshrrev_b32_e32 v3, 16, v4
	v_and_or_b32 v2, v3, s15, v2
	v_and_b32_e32 v3, 0xffff, v5
	v_lshl_or_b32 v2, v2, 16, v3
	v_mov_b32_e32 v3, s7
	v_add_co_u32_e32 v0, vcc, s6, v0
	v_addc_co_u32_e32 v1, vcc, v1, v3, vcc
	global_store_dword v[0:1], v2, off
.LBB0_31:
	s_endpgm
	.section	.rodata,"a",@progbits
	.p2align	6, 0x0
	.amdhsa_kernel bluestein_single_back_len990_dim1_half_op_CI_CI
		.amdhsa_group_segment_fixed_size 3960
		.amdhsa_private_segment_fixed_size 0
		.amdhsa_kernarg_size 104
		.amdhsa_user_sgpr_count 6
		.amdhsa_user_sgpr_private_segment_buffer 1
		.amdhsa_user_sgpr_dispatch_ptr 0
		.amdhsa_user_sgpr_queue_ptr 0
		.amdhsa_user_sgpr_kernarg_segment_ptr 1
		.amdhsa_user_sgpr_dispatch_id 0
		.amdhsa_user_sgpr_flat_scratch_init 0
		.amdhsa_user_sgpr_private_segment_size 0
		.amdhsa_uses_dynamic_stack 0
		.amdhsa_system_sgpr_private_segment_wavefront_offset 0
		.amdhsa_system_sgpr_workgroup_id_x 1
		.amdhsa_system_sgpr_workgroup_id_y 0
		.amdhsa_system_sgpr_workgroup_id_z 0
		.amdhsa_system_sgpr_workgroup_info 0
		.amdhsa_system_vgpr_workitem_id 0
		.amdhsa_next_free_vgpr 176
		.amdhsa_next_free_sgpr 29
		.amdhsa_reserve_vcc 1
		.amdhsa_reserve_flat_scratch 0
		.amdhsa_float_round_mode_32 0
		.amdhsa_float_round_mode_16_64 0
		.amdhsa_float_denorm_mode_32 3
		.amdhsa_float_denorm_mode_16_64 3
		.amdhsa_dx10_clamp 1
		.amdhsa_ieee_mode 1
		.amdhsa_fp16_overflow 0
		.amdhsa_exception_fp_ieee_invalid_op 0
		.amdhsa_exception_fp_denorm_src 0
		.amdhsa_exception_fp_ieee_div_zero 0
		.amdhsa_exception_fp_ieee_overflow 0
		.amdhsa_exception_fp_ieee_underflow 0
		.amdhsa_exception_fp_ieee_inexact 0
		.amdhsa_exception_int_div_zero 0
	.end_amdhsa_kernel
	.text
.Lfunc_end0:
	.size	bluestein_single_back_len990_dim1_half_op_CI_CI, .Lfunc_end0-bluestein_single_back_len990_dim1_half_op_CI_CI
                                        ; -- End function
	.section	.AMDGPU.csdata,"",@progbits
; Kernel info:
; codeLenInByte = 18380
; NumSgprs: 33
; NumVgprs: 176
; ScratchSize: 0
; MemoryBound: 0
; FloatMode: 240
; IeeeMode: 1
; LDSByteSize: 3960 bytes/workgroup (compile time only)
; SGPRBlocks: 4
; VGPRBlocks: 43
; NumSGPRsForWavesPerEU: 33
; NumVGPRsForWavesPerEU: 176
; Occupancy: 1
; WaveLimiterHint : 1
; COMPUTE_PGM_RSRC2:SCRATCH_EN: 0
; COMPUTE_PGM_RSRC2:USER_SGPR: 6
; COMPUTE_PGM_RSRC2:TRAP_HANDLER: 0
; COMPUTE_PGM_RSRC2:TGID_X_EN: 1
; COMPUTE_PGM_RSRC2:TGID_Y_EN: 0
; COMPUTE_PGM_RSRC2:TGID_Z_EN: 0
; COMPUTE_PGM_RSRC2:TIDIG_COMP_CNT: 0
	.type	__hip_cuid_63f801d302b8aeeb,@object ; @__hip_cuid_63f801d302b8aeeb
	.section	.bss,"aw",@nobits
	.globl	__hip_cuid_63f801d302b8aeeb
__hip_cuid_63f801d302b8aeeb:
	.byte	0                               ; 0x0
	.size	__hip_cuid_63f801d302b8aeeb, 1

	.ident	"AMD clang version 19.0.0git (https://github.com/RadeonOpenCompute/llvm-project roc-6.4.0 25133 c7fe45cf4b819c5991fe208aaa96edf142730f1d)"
	.section	".note.GNU-stack","",@progbits
	.addrsig
	.addrsig_sym __hip_cuid_63f801d302b8aeeb
	.amdgpu_metadata
---
amdhsa.kernels:
  - .args:
      - .actual_access:  read_only
        .address_space:  global
        .offset:         0
        .size:           8
        .value_kind:     global_buffer
      - .actual_access:  read_only
        .address_space:  global
        .offset:         8
        .size:           8
        .value_kind:     global_buffer
      - .actual_access:  read_only
        .address_space:  global
        .offset:         16
        .size:           8
        .value_kind:     global_buffer
      - .actual_access:  read_only
        .address_space:  global
        .offset:         24
        .size:           8
        .value_kind:     global_buffer
      - .actual_access:  read_only
        .address_space:  global
        .offset:         32
        .size:           8
        .value_kind:     global_buffer
      - .offset:         40
        .size:           8
        .value_kind:     by_value
      - .address_space:  global
        .offset:         48
        .size:           8
        .value_kind:     global_buffer
      - .address_space:  global
        .offset:         56
        .size:           8
        .value_kind:     global_buffer
      - .address_space:  global
        .offset:         64
        .size:           8
        .value_kind:     global_buffer
      - .address_space:  global
        .offset:         72
        .size:           8
        .value_kind:     global_buffer
      - .offset:         80
        .size:           4
        .value_kind:     by_value
      - .address_space:  global
        .offset:         88
        .size:           8
        .value_kind:     global_buffer
      - .address_space:  global
        .offset:         96
        .size:           8
        .value_kind:     global_buffer
    .group_segment_fixed_size: 3960
    .kernarg_segment_align: 8
    .kernarg_segment_size: 104
    .language:       OpenCL C
    .language_version:
      - 2
      - 0
    .max_flat_workgroup_size: 110
    .name:           bluestein_single_back_len990_dim1_half_op_CI_CI
    .private_segment_fixed_size: 0
    .sgpr_count:     33
    .sgpr_spill_count: 0
    .symbol:         bluestein_single_back_len990_dim1_half_op_CI_CI.kd
    .uniform_work_group_size: 1
    .uses_dynamic_stack: false
    .vgpr_count:     176
    .vgpr_spill_count: 0
    .wavefront_size: 64
amdhsa.target:   amdgcn-amd-amdhsa--gfx906
amdhsa.version:
  - 1
  - 2
...

	.end_amdgpu_metadata
